;; amdgpu-corpus repo=ROCm/rocFFT kind=compiled arch=gfx1100 opt=O3
	.text
	.amdgcn_target "amdgcn-amd-amdhsa--gfx1100"
	.amdhsa_code_object_version 6
	.protected	fft_rtc_back_len450_factors_10_5_3_3_wgs_120_tpt_30_halfLds_sp_op_CI_CI_sbrr_dirReg ; -- Begin function fft_rtc_back_len450_factors_10_5_3_3_wgs_120_tpt_30_halfLds_sp_op_CI_CI_sbrr_dirReg
	.globl	fft_rtc_back_len450_factors_10_5_3_3_wgs_120_tpt_30_halfLds_sp_op_CI_CI_sbrr_dirReg
	.p2align	8
	.type	fft_rtc_back_len450_factors_10_5_3_3_wgs_120_tpt_30_halfLds_sp_op_CI_CI_sbrr_dirReg,@function
fft_rtc_back_len450_factors_10_5_3_3_wgs_120_tpt_30_halfLds_sp_op_CI_CI_sbrr_dirReg: ; @fft_rtc_back_len450_factors_10_5_3_3_wgs_120_tpt_30_halfLds_sp_op_CI_CI_sbrr_dirReg
; %bb.0:
	s_clause 0x2
	s_load_b128 s[16:19], s[0:1], 0x18
	s_load_b128 s[8:11], s[0:1], 0x0
	;; [unrolled: 1-line block ×3, first 2 shown]
	v_mul_u32_u24_e32 v1, 0x889, v0
	v_mov_b32_e32 v44, 0
	v_mov_b32_e32 v45, 0
	s_waitcnt lgkmcnt(0)
	s_load_b64 s[20:21], s[16:17], 0x0
	s_load_b64 s[12:13], s[18:19], 0x0
	v_lshrrev_b32_e32 v47, 16, v1
	v_mov_b32_e32 v1, 0
	v_cmp_lt_u64_e64 s2, s[10:11], 2
	s_delay_alu instid0(VALU_DEP_3) | instskip(NEXT) | instid1(VALU_DEP_3)
	v_lshl_add_u32 v8, s15, 2, v47
	v_mov_b32_e32 v9, v1
	s_delay_alu instid0(VALU_DEP_3)
	s_and_b32 vcc_lo, exec_lo, s2
	s_cbranch_vccnz .LBB0_8
; %bb.1:
	s_load_b64 s[2:3], s[0:1], 0x10
	v_mov_b32_e32 v44, 0
	v_mov_b32_e32 v45, 0
	s_add_u32 s14, s18, 8
	s_addc_u32 s15, s19, 0
	s_add_u32 s22, s16, 8
	s_delay_alu instid0(VALU_DEP_1)
	v_dual_mov_b32 v4, v44 :: v_dual_mov_b32 v5, v45
	s_addc_u32 s23, s17, 0
	s_mov_b64 s[26:27], 1
	s_waitcnt lgkmcnt(0)
	s_add_u32 s24, s2, 8
	s_addc_u32 s25, s3, 0
.LBB0_2:                                ; =>This Inner Loop Header: Depth=1
	s_load_b64 s[28:29], s[24:25], 0x0
                                        ; implicit-def: $vgpr6_vgpr7
	s_mov_b32 s2, exec_lo
	s_waitcnt lgkmcnt(0)
	v_or_b32_e32 v2, s29, v9
	s_delay_alu instid0(VALU_DEP_1)
	v_cmpx_ne_u64_e32 0, v[1:2]
	s_xor_b32 s3, exec_lo, s2
	s_cbranch_execz .LBB0_4
; %bb.3:                                ;   in Loop: Header=BB0_2 Depth=1
	v_cvt_f32_u32_e32 v2, s28
	v_cvt_f32_u32_e32 v3, s29
	s_sub_u32 s2, 0, s28
	s_subb_u32 s30, 0, s29
	s_delay_alu instid0(VALU_DEP_1) | instskip(NEXT) | instid1(VALU_DEP_1)
	v_fmac_f32_e32 v2, 0x4f800000, v3
	v_rcp_f32_e32 v2, v2
	s_waitcnt_depctr 0xfff
	v_mul_f32_e32 v2, 0x5f7ffffc, v2
	s_delay_alu instid0(VALU_DEP_1) | instskip(NEXT) | instid1(VALU_DEP_1)
	v_mul_f32_e32 v3, 0x2f800000, v2
	v_trunc_f32_e32 v3, v3
	s_delay_alu instid0(VALU_DEP_1) | instskip(SKIP_1) | instid1(VALU_DEP_2)
	v_fmac_f32_e32 v2, 0xcf800000, v3
	v_cvt_u32_f32_e32 v3, v3
	v_cvt_u32_f32_e32 v2, v2
	s_delay_alu instid0(VALU_DEP_2) | instskip(NEXT) | instid1(VALU_DEP_2)
	v_mul_lo_u32 v6, s2, v3
	v_mul_hi_u32 v7, s2, v2
	v_mul_lo_u32 v10, s30, v2
	s_delay_alu instid0(VALU_DEP_2) | instskip(SKIP_1) | instid1(VALU_DEP_2)
	v_add_nc_u32_e32 v6, v7, v6
	v_mul_lo_u32 v7, s2, v2
	v_add_nc_u32_e32 v6, v6, v10
	s_delay_alu instid0(VALU_DEP_2) | instskip(NEXT) | instid1(VALU_DEP_2)
	v_mul_hi_u32 v10, v2, v7
	v_mul_lo_u32 v11, v2, v6
	v_mul_hi_u32 v12, v2, v6
	v_mul_hi_u32 v13, v3, v7
	v_mul_lo_u32 v7, v3, v7
	v_mul_hi_u32 v14, v3, v6
	v_mul_lo_u32 v6, v3, v6
	v_add_co_u32 v10, vcc_lo, v10, v11
	v_add_co_ci_u32_e32 v11, vcc_lo, 0, v12, vcc_lo
	s_delay_alu instid0(VALU_DEP_2) | instskip(NEXT) | instid1(VALU_DEP_2)
	v_add_co_u32 v7, vcc_lo, v10, v7
	v_add_co_ci_u32_e32 v7, vcc_lo, v11, v13, vcc_lo
	v_add_co_ci_u32_e32 v10, vcc_lo, 0, v14, vcc_lo
	s_delay_alu instid0(VALU_DEP_2) | instskip(NEXT) | instid1(VALU_DEP_2)
	v_add_co_u32 v6, vcc_lo, v7, v6
	v_add_co_ci_u32_e32 v7, vcc_lo, 0, v10, vcc_lo
	s_delay_alu instid0(VALU_DEP_2) | instskip(NEXT) | instid1(VALU_DEP_2)
	v_add_co_u32 v2, vcc_lo, v2, v6
	v_add_co_ci_u32_e32 v3, vcc_lo, v3, v7, vcc_lo
	s_delay_alu instid0(VALU_DEP_2) | instskip(SKIP_1) | instid1(VALU_DEP_3)
	v_mul_hi_u32 v6, s2, v2
	v_mul_lo_u32 v10, s30, v2
	v_mul_lo_u32 v7, s2, v3
	s_delay_alu instid0(VALU_DEP_1) | instskip(SKIP_1) | instid1(VALU_DEP_2)
	v_add_nc_u32_e32 v6, v6, v7
	v_mul_lo_u32 v7, s2, v2
	v_add_nc_u32_e32 v6, v6, v10
	s_delay_alu instid0(VALU_DEP_2) | instskip(NEXT) | instid1(VALU_DEP_2)
	v_mul_hi_u32 v10, v2, v7
	v_mul_lo_u32 v11, v2, v6
	v_mul_hi_u32 v12, v2, v6
	v_mul_hi_u32 v13, v3, v7
	v_mul_lo_u32 v7, v3, v7
	v_mul_hi_u32 v14, v3, v6
	v_mul_lo_u32 v6, v3, v6
	v_add_co_u32 v10, vcc_lo, v10, v11
	v_add_co_ci_u32_e32 v11, vcc_lo, 0, v12, vcc_lo
	s_delay_alu instid0(VALU_DEP_2) | instskip(NEXT) | instid1(VALU_DEP_2)
	v_add_co_u32 v7, vcc_lo, v10, v7
	v_add_co_ci_u32_e32 v7, vcc_lo, v11, v13, vcc_lo
	v_add_co_ci_u32_e32 v10, vcc_lo, 0, v14, vcc_lo
	s_delay_alu instid0(VALU_DEP_2) | instskip(NEXT) | instid1(VALU_DEP_2)
	v_add_co_u32 v6, vcc_lo, v7, v6
	v_add_co_ci_u32_e32 v7, vcc_lo, 0, v10, vcc_lo
	s_delay_alu instid0(VALU_DEP_2) | instskip(NEXT) | instid1(VALU_DEP_2)
	v_add_co_u32 v10, vcc_lo, v2, v6
	v_add_co_ci_u32_e32 v12, vcc_lo, v3, v7, vcc_lo
	s_delay_alu instid0(VALU_DEP_2) | instskip(SKIP_1) | instid1(VALU_DEP_3)
	v_mul_hi_u32 v13, v8, v10
	v_mad_u64_u32 v[6:7], null, v9, v10, 0
	v_mad_u64_u32 v[2:3], null, v8, v12, 0
	v_mad_u64_u32 v[10:11], null, v9, v12, 0
	s_delay_alu instid0(VALU_DEP_2) | instskip(NEXT) | instid1(VALU_DEP_3)
	v_add_co_u32 v2, vcc_lo, v13, v2
	v_add_co_ci_u32_e32 v3, vcc_lo, 0, v3, vcc_lo
	s_delay_alu instid0(VALU_DEP_2) | instskip(NEXT) | instid1(VALU_DEP_2)
	v_add_co_u32 v2, vcc_lo, v2, v6
	v_add_co_ci_u32_e32 v2, vcc_lo, v3, v7, vcc_lo
	v_add_co_ci_u32_e32 v3, vcc_lo, 0, v11, vcc_lo
	s_delay_alu instid0(VALU_DEP_2) | instskip(NEXT) | instid1(VALU_DEP_2)
	v_add_co_u32 v6, vcc_lo, v2, v10
	v_add_co_ci_u32_e32 v7, vcc_lo, 0, v3, vcc_lo
	s_delay_alu instid0(VALU_DEP_2) | instskip(SKIP_1) | instid1(VALU_DEP_3)
	v_mul_lo_u32 v10, s29, v6
	v_mad_u64_u32 v[2:3], null, s28, v6, 0
	v_mul_lo_u32 v11, s28, v7
	s_delay_alu instid0(VALU_DEP_2) | instskip(NEXT) | instid1(VALU_DEP_2)
	v_sub_co_u32 v2, vcc_lo, v8, v2
	v_add3_u32 v3, v3, v11, v10
	s_delay_alu instid0(VALU_DEP_1) | instskip(NEXT) | instid1(VALU_DEP_1)
	v_sub_nc_u32_e32 v10, v9, v3
	v_subrev_co_ci_u32_e64 v10, s2, s29, v10, vcc_lo
	v_add_co_u32 v11, s2, v6, 2
	s_delay_alu instid0(VALU_DEP_1) | instskip(SKIP_3) | instid1(VALU_DEP_3)
	v_add_co_ci_u32_e64 v12, s2, 0, v7, s2
	v_sub_co_u32 v13, s2, v2, s28
	v_sub_co_ci_u32_e32 v3, vcc_lo, v9, v3, vcc_lo
	v_subrev_co_ci_u32_e64 v10, s2, 0, v10, s2
	v_cmp_le_u32_e32 vcc_lo, s28, v13
	s_delay_alu instid0(VALU_DEP_3) | instskip(SKIP_1) | instid1(VALU_DEP_4)
	v_cmp_eq_u32_e64 s2, s29, v3
	v_cndmask_b32_e64 v13, 0, -1, vcc_lo
	v_cmp_le_u32_e32 vcc_lo, s29, v10
	v_cndmask_b32_e64 v14, 0, -1, vcc_lo
	v_cmp_le_u32_e32 vcc_lo, s28, v2
	;; [unrolled: 2-line block ×3, first 2 shown]
	v_cndmask_b32_e64 v15, 0, -1, vcc_lo
	v_cmp_eq_u32_e32 vcc_lo, s29, v10
	s_delay_alu instid0(VALU_DEP_2) | instskip(SKIP_3) | instid1(VALU_DEP_3)
	v_cndmask_b32_e64 v2, v15, v2, s2
	v_cndmask_b32_e32 v10, v14, v13, vcc_lo
	v_add_co_u32 v13, vcc_lo, v6, 1
	v_add_co_ci_u32_e32 v14, vcc_lo, 0, v7, vcc_lo
	v_cmp_ne_u32_e32 vcc_lo, 0, v10
	s_delay_alu instid0(VALU_DEP_2) | instskip(SKIP_1) | instid1(VALU_DEP_2)
	v_dual_cndmask_b32 v3, v14, v12 :: v_dual_cndmask_b32 v10, v13, v11
	v_cmp_ne_u32_e32 vcc_lo, 0, v2
	v_dual_cndmask_b32 v7, v7, v3 :: v_dual_cndmask_b32 v6, v6, v10
.LBB0_4:                                ;   in Loop: Header=BB0_2 Depth=1
	s_and_not1_saveexec_b32 s2, s3
	s_cbranch_execz .LBB0_6
; %bb.5:                                ;   in Loop: Header=BB0_2 Depth=1
	v_cvt_f32_u32_e32 v2, s28
	s_sub_i32 s3, 0, s28
	s_delay_alu instid0(VALU_DEP_1) | instskip(SKIP_2) | instid1(VALU_DEP_1)
	v_rcp_iflag_f32_e32 v2, v2
	s_waitcnt_depctr 0xfff
	v_mul_f32_e32 v2, 0x4f7ffffe, v2
	v_cvt_u32_f32_e32 v2, v2
	s_delay_alu instid0(VALU_DEP_1) | instskip(NEXT) | instid1(VALU_DEP_1)
	v_mul_lo_u32 v3, s3, v2
	v_mul_hi_u32 v3, v2, v3
	s_delay_alu instid0(VALU_DEP_1) | instskip(NEXT) | instid1(VALU_DEP_1)
	v_add_nc_u32_e32 v2, v2, v3
	v_mul_hi_u32 v2, v8, v2
	s_delay_alu instid0(VALU_DEP_1) | instskip(SKIP_1) | instid1(VALU_DEP_2)
	v_mul_lo_u32 v3, v2, s28
	v_add_nc_u32_e32 v6, 1, v2
	v_sub_nc_u32_e32 v3, v8, v3
	s_delay_alu instid0(VALU_DEP_1) | instskip(SKIP_1) | instid1(VALU_DEP_2)
	v_subrev_nc_u32_e32 v7, s28, v3
	v_cmp_le_u32_e32 vcc_lo, s28, v3
	v_cndmask_b32_e32 v3, v3, v7, vcc_lo
	v_dual_mov_b32 v7, v1 :: v_dual_cndmask_b32 v2, v2, v6
	s_delay_alu instid0(VALU_DEP_2) | instskip(NEXT) | instid1(VALU_DEP_2)
	v_cmp_le_u32_e32 vcc_lo, s28, v3
	v_add_nc_u32_e32 v6, 1, v2
	s_delay_alu instid0(VALU_DEP_1)
	v_cndmask_b32_e32 v6, v2, v6, vcc_lo
.LBB0_6:                                ;   in Loop: Header=BB0_2 Depth=1
	s_or_b32 exec_lo, exec_lo, s2
	s_delay_alu instid0(VALU_DEP_1) | instskip(NEXT) | instid1(VALU_DEP_2)
	v_mul_lo_u32 v10, v7, s28
	v_mul_lo_u32 v11, v6, s29
	s_load_b64 s[2:3], s[22:23], 0x0
	v_mad_u64_u32 v[2:3], null, v6, s28, 0
	s_load_b64 s[28:29], s[14:15], 0x0
	s_add_u32 s26, s26, 1
	s_addc_u32 s27, s27, 0
	s_add_u32 s14, s14, 8
	s_addc_u32 s15, s15, 0
	s_add_u32 s22, s22, 8
	s_delay_alu instid0(VALU_DEP_1) | instskip(SKIP_3) | instid1(VALU_DEP_2)
	v_add3_u32 v3, v3, v11, v10
	v_sub_co_u32 v10, vcc_lo, v8, v2
	s_addc_u32 s23, s23, 0
	s_add_u32 s24, s24, 8
	v_sub_co_ci_u32_e32 v8, vcc_lo, v9, v3, vcc_lo
	s_addc_u32 s25, s25, 0
	s_waitcnt lgkmcnt(0)
	s_delay_alu instid0(VALU_DEP_1)
	v_mul_lo_u32 v11, s2, v8
	v_mul_lo_u32 v12, s3, v10
	v_mad_u64_u32 v[2:3], null, s2, v10, v[44:45]
	v_mul_lo_u32 v13, s28, v8
	v_mul_lo_u32 v14, s29, v10
	v_mad_u64_u32 v[8:9], null, s28, v10, v[4:5]
	v_cmp_ge_u64_e64 s2, s[26:27], s[10:11]
	v_add3_u32 v45, v12, v3, v11
	v_mov_b32_e32 v44, v2
	s_delay_alu instid0(VALU_DEP_4)
	v_add3_u32 v5, v14, v9, v13
	v_mov_b32_e32 v4, v8
	s_and_b32 vcc_lo, exec_lo, s2
	s_cbranch_vccnz .LBB0_9
; %bb.7:                                ;   in Loop: Header=BB0_2 Depth=1
	v_dual_mov_b32 v9, v7 :: v_dual_mov_b32 v8, v6
	s_branch .LBB0_2
.LBB0_8:
	v_dual_mov_b32 v4, v44 :: v_dual_mov_b32 v5, v45
	s_delay_alu instid0(VALU_DEP_2)
	v_dual_mov_b32 v6, v8 :: v_dual_mov_b32 v7, v9
.LBB0_9:
	s_load_b64 s[0:1], s[0:1], 0x28
	v_mul_hi_u32 v2, 0x8888889, v0
	s_lshl_b64 s[10:11], s[10:11], 3
                                        ; implicit-def: $vgpr46
	s_delay_alu instid0(SALU_CYCLE_1) | instskip(SKIP_4) | instid1(VALU_DEP_1)
	s_add_u32 s2, s18, s10
	s_addc_u32 s3, s19, s11
	s_waitcnt lgkmcnt(0)
	v_cmp_gt_u64_e32 vcc_lo, s[0:1], v[6:7]
	v_cmp_le_u64_e64 s0, s[0:1], v[6:7]
	s_and_saveexec_b32 s1, s0
	s_delay_alu instid0(SALU_CYCLE_1)
	s_xor_b32 s0, exec_lo, s1
; %bb.10:
	v_mul_u32_u24_e32 v1, 30, v2
                                        ; implicit-def: $vgpr2
                                        ; implicit-def: $vgpr44_vgpr45
	s_delay_alu instid0(VALU_DEP_1)
	v_sub_nc_u32_e32 v46, v0, v1
                                        ; implicit-def: $vgpr0
; %bb.11:
	s_or_saveexec_b32 s1, s0
	s_load_b64 s[2:3], s[2:3], 0x0
                                        ; implicit-def: $vgpr39
                                        ; implicit-def: $vgpr43
                                        ; implicit-def: $vgpr33
                                        ; implicit-def: $vgpr41
                                        ; implicit-def: $vgpr37
                                        ; implicit-def: $vgpr35
                                        ; implicit-def: $vgpr25
                                        ; implicit-def: $vgpr19
                                        ; implicit-def: $vgpr21
                                        ; implicit-def: $vgpr9
                                        ; implicit-def: $vgpr15
                                        ; implicit-def: $vgpr29
                                        ; implicit-def: $vgpr17
                                        ; implicit-def: $vgpr27
                                        ; implicit-def: $vgpr23
                                        ; implicit-def: $vgpr31
                                        ; implicit-def: $vgpr11
                                        ; implicit-def: $vgpr13
                                        ; implicit-def: $vgpr3
                                        ; implicit-def: $vgpr1
	s_xor_b32 exec_lo, exec_lo, s1
	s_cbranch_execz .LBB0_15
; %bb.12:
	v_mul_u32_u24_e32 v1, 30, v2
	s_add_u32 s10, s16, s10
	s_addc_u32 s11, s17, s11
                                        ; implicit-def: $vgpr34
                                        ; implicit-def: $vgpr36
                                        ; implicit-def: $vgpr40
                                        ; implicit-def: $vgpr32
                                        ; implicit-def: $vgpr42
                                        ; implicit-def: $vgpr38
	s_load_b64 s[10:11], s[10:11], 0x0
	s_delay_alu instid0(VALU_DEP_1) | instskip(SKIP_1) | instid1(VALU_DEP_2)
	v_sub_nc_u32_e32 v46, v0, v1
	v_lshlrev_b64 v[0:1], 3, v[44:45]
	v_mad_u64_u32 v[2:3], null, s20, v46, 0
	v_add_nc_u32_e32 v24, 0xb4, v46
	v_add_nc_u32_e32 v23, 0x87, v46
	;; [unrolled: 1-line block ×3, first 2 shown]
	s_delay_alu instid0(VALU_DEP_4) | instskip(NEXT) | instid1(VALU_DEP_4)
	v_mad_u64_u32 v[16:17], null, s21, v46, v[3:4]
	v_mad_u64_u32 v[17:18], null, s20, v24, 0
	v_add_nc_u32_e32 v21, 45, v46
	v_mad_u64_u32 v[14:15], null, s20, v23, 0
	s_waitcnt lgkmcnt(0)
	v_mul_lo_u32 v19, s11, v6
	v_mul_lo_u32 v20, s10, v7
	v_mad_u64_u32 v[8:9], null, s20, v21, 0
	v_mad_u64_u32 v[12:13], null, s10, v6, 0
	s_delay_alu instid0(VALU_DEP_2) | instskip(NEXT) | instid1(VALU_DEP_1)
	v_dual_mov_b32 v3, v9 :: v_dual_add_nc_u32 v22, 0x5a, v46
	v_mad_u64_u32 v[10:11], null, s20, v22, 0
	s_delay_alu instid0(VALU_DEP_3) | instskip(NEXT) | instid1(VALU_DEP_3)
	v_add3_u32 v13, v13, v20, v19
	v_mad_u64_u32 v[19:20], null, s21, v21, v[3:4]
	v_mov_b32_e32 v3, v16
	s_delay_alu instid0(VALU_DEP_3) | instskip(SKIP_2) | instid1(VALU_DEP_4)
	v_lshlrev_b64 v[12:13], 3, v[12:13]
	v_mov_b32_e32 v9, v11
	v_mov_b32_e32 v11, v15
	v_lshlrev_b64 v[2:3], 3, v[2:3]
	s_delay_alu instid0(VALU_DEP_3) | instskip(NEXT) | instid1(VALU_DEP_3)
	v_mad_u64_u32 v[15:16], null, s21, v22, v[9:10]
	v_mad_u64_u32 v[20:21], null, s21, v23, v[11:12]
	v_add_co_u32 v11, s0, s4, v12
	s_delay_alu instid0(VALU_DEP_1) | instskip(SKIP_1) | instid1(VALU_DEP_3)
	v_add_co_ci_u32_e64 v12, s0, s5, v13, s0
	v_mov_b32_e32 v9, v19
	v_add_co_u32 v33, s0, v11, v0
	s_delay_alu instid0(VALU_DEP_1) | instskip(NEXT) | instid1(VALU_DEP_3)
	v_add_co_ci_u32_e64 v35, s0, v12, v1, s0
	v_lshlrev_b64 v[0:1], 3, v[8:9]
	s_delay_alu instid0(VALU_DEP_3) | instskip(NEXT) | instid1(VALU_DEP_1)
	v_add_co_u32 v2, s0, v33, v2
	v_add_co_ci_u32_e64 v3, s0, v35, v3, s0
	v_mad_u64_u32 v[21:22], null, s20, v26, 0
	s_delay_alu instid0(VALU_DEP_4) | instskip(SKIP_4) | instid1(VALU_DEP_3)
	v_add_co_u32 v8, s0, v33, v0
	v_mov_b32_e32 v11, v15
	v_mov_b32_e32 v15, v20
	v_add_co_ci_u32_e64 v9, s0, v35, v1, s0
	v_dual_mov_b32 v0, v18 :: v_dual_add_nc_u32 v1, 0xe1, v46
	v_lshlrev_b64 v[12:13], 3, v[14:15]
	v_lshlrev_b64 v[10:11], 3, v[10:11]
	s_mov_b32 s4, exec_lo
	s_delay_alu instid0(VALU_DEP_3) | instskip(SKIP_1) | instid1(VALU_DEP_3)
	v_mad_u64_u32 v[14:15], null, s21, v24, v[0:1]
	v_mad_u64_u32 v[15:16], null, s20, v1, 0
	v_add_co_u32 v10, s0, v33, v10
	s_delay_alu instid0(VALU_DEP_1) | instskip(SKIP_1) | instid1(VALU_DEP_4)
	v_add_co_ci_u32_e64 v11, s0, v35, v11, s0
	v_add_co_u32 v19, s0, v33, v12
	v_mov_b32_e32 v0, v16
	v_add_co_ci_u32_e64 v20, s0, v35, v13, s0
	v_mov_b32_e32 v18, v14
	v_add_nc_u32_e32 v14, 0x13b, v46
	s_delay_alu instid0(VALU_DEP_4)
	v_mad_u64_u32 v[23:24], null, s21, v1, v[0:1]
	s_clause 0x3
	global_load_b64 v[0:1], v[2:3], off
	global_load_b64 v[2:3], v[8:9], off
	;; [unrolled: 1-line block ×4, first 2 shown]
	v_mov_b32_e32 v8, v22
	v_mad_u64_u32 v[24:25], null, s20, v14, 0
	v_lshlrev_b64 v[17:18], 3, v[17:18]
	v_dual_mov_b32 v16, v23 :: v_dual_add_nc_u32 v23, 0x168, v46
	s_delay_alu instid0(VALU_DEP_4) | instskip(NEXT) | instid1(VALU_DEP_4)
	v_mad_u64_u32 v[19:20], null, s21, v26, v[8:9]
	v_mov_b32_e32 v8, v25
	s_delay_alu instid0(VALU_DEP_3) | instskip(NEXT) | instid1(VALU_DEP_4)
	v_lshlrev_b64 v[15:16], 3, v[15:16]
	v_mad_u64_u32 v[26:27], null, s20, v23, 0
	v_add_co_u32 v17, s0, v33, v17
	s_delay_alu instid0(VALU_DEP_4)
	v_mad_u64_u32 v[28:29], null, s21, v14, v[8:9]
	v_add_nc_u32_e32 v30, 0x195, v46
	v_mov_b32_e32 v22, v19
	v_mov_b32_e32 v14, v27
	v_add_co_ci_u32_e64 v18, s0, v35, v18, s0
	v_mov_b32_e32 v25, v28
	v_mad_u64_u32 v[8:9], null, s20, v30, 0
	s_delay_alu instid0(VALU_DEP_4) | instskip(SKIP_2) | instid1(VALU_DEP_1)
	v_mad_u64_u32 v[19:20], null, s21, v23, v[14:15]
	v_lshlrev_b64 v[20:21], 3, v[21:22]
	v_add_co_u32 v14, s0, v33, v15
	v_add_co_ci_u32_e64 v15, s0, v35, v16, s0
	s_delay_alu instid0(VALU_DEP_4) | instskip(NEXT) | instid1(VALU_DEP_4)
	v_mov_b32_e32 v27, v19
	v_add_co_u32 v19, s0, v33, v20
	s_delay_alu instid0(VALU_DEP_1) | instskip(SKIP_4) | instid1(VALU_DEP_3)
	v_add_co_ci_u32_e64 v20, s0, v35, v21, s0
	s_waitcnt vmcnt(0)
	v_mad_u64_u32 v[22:23], null, s21, v30, v[9:10]
	v_lshlrev_b64 v[23:24], 3, v[24:25]
	v_lshlrev_b64 v[25:26], 3, v[26:27]
	v_mov_b32_e32 v9, v22
	s_delay_alu instid0(VALU_DEP_3) | instskip(NEXT) | instid1(VALU_DEP_1)
	v_add_co_u32 v28, s0, v33, v23
	v_add_co_ci_u32_e64 v29, s0, v35, v24, s0
	s_delay_alu instid0(VALU_DEP_3) | instskip(SKIP_1) | instid1(VALU_DEP_1)
	v_lshlrev_b64 v[8:9], 3, v[8:9]
	v_add_co_u32 v24, s0, v33, v25
	v_add_co_ci_u32_e64 v25, s0, v35, v26, s0
	s_delay_alu instid0(VALU_DEP_3) | instskip(NEXT) | instid1(VALU_DEP_1)
	v_add_co_u32 v8, s0, v33, v8
	v_add_co_ci_u32_e64 v9, s0, v35, v9, s0
	s_clause 0x5
	global_load_b64 v[30:31], v[17:18], off
	global_load_b64 v[22:23], v[14:15], off
	;; [unrolled: 1-line block ×6, first 2 shown]
                                        ; implicit-def: $vgpr8
                                        ; implicit-def: $vgpr20
                                        ; implicit-def: $vgpr18
                                        ; implicit-def: $vgpr24
	v_cmpx_gt_u32_e32 15, v46
	s_cbranch_execz .LBB0_14
; %bb.13:
	v_add_nc_u32_e32 v40, 0x78, v46
	v_add_nc_u32_e32 v41, 0xa5, v46
	;; [unrolled: 1-line block ×4, first 2 shown]
	s_delay_alu instid0(VALU_DEP_4) | instskip(SKIP_3) | instid1(VALU_DEP_3)
	v_mad_u64_u32 v[20:21], null, s20, v40, 0
	v_add_nc_u32_e32 v32, 30, v46
	v_mad_u64_u32 v[24:25], null, s20, v41, 0
	v_add_nc_u32_e32 v34, 0x4b, v46
	v_mad_u64_u32 v[8:9], null, s20, v32, 0
	s_delay_alu instid0(VALU_DEP_1) | instskip(SKIP_3) | instid1(VALU_DEP_1)
	v_mad_u64_u32 v[36:37], null, s21, v32, v[9:10]
	v_mov_b32_e32 v9, v21
	v_mov_b32_e32 v21, v25
	v_mad_u64_u32 v[18:19], null, s20, v34, 0
	v_mad_u64_u32 v[37:38], null, s21, v34, v[19:20]
	v_add_nc_u32_e32 v34, 0xd2, v46
	v_mad_u64_u32 v[38:39], null, s21, v40, v[9:10]
	v_mov_b32_e32 v9, v36
	s_delay_alu instid0(VALU_DEP_4) | instskip(NEXT) | instid1(VALU_DEP_4)
	v_mov_b32_e32 v19, v37
	v_mad_u64_u32 v[36:37], null, s20, v34, 0
	s_delay_alu instid0(VALU_DEP_3) | instskip(NEXT) | instid1(VALU_DEP_3)
	v_lshlrev_b64 v[8:9], 3, v[8:9]
	v_lshlrev_b64 v[18:19], 3, v[18:19]
	s_delay_alu instid0(VALU_DEP_3)
	v_mov_b32_e32 v32, v37
	s_waitcnt vmcnt(4)
	v_mad_u64_u32 v[39:40], null, s21, v41, v[21:22]
	v_mov_b32_e32 v21, v38
	v_add_co_u32 v8, s0, v33, v8
	v_mad_u64_u32 v[37:38], null, s21, v34, v[32:33]
	s_delay_alu instid0(VALU_DEP_3) | instskip(SKIP_4) | instid1(VALU_DEP_1)
	v_lshlrev_b64 v[20:21], 3, v[20:21]
	v_dual_mov_b32 v25, v39 :: v_dual_add_nc_u32 v34, 0x12c, v46
	v_mad_u64_u32 v[38:39], null, s20, v48, 0
	v_add_co_ci_u32_e64 v9, s0, v35, v9, s0
	v_add_co_u32 v18, s0, v33, v18
	v_add_co_ci_u32_e64 v19, s0, v35, v19, s0
	v_add_co_u32 v40, s0, v33, v20
	v_mov_b32_e32 v20, v39
	v_mad_u64_u32 v[42:43], null, s20, v34, 0
	v_lshlrev_b64 v[24:25], 3, v[24:25]
	v_add_co_ci_u32_e64 v41, s0, v35, v21, s0
	s_delay_alu instid0(VALU_DEP_4) | instskip(SKIP_3) | instid1(VALU_DEP_1)
	v_mad_u64_u32 v[44:45], null, s21, v48, v[20:21]
	v_mad_u64_u32 v[48:49], null, s20, v51, 0
	v_mov_b32_e32 v32, v43
	v_add_co_u32 v24, s0, v33, v24
	v_add_co_ci_u32_e64 v25, s0, v35, v25, s0
	v_mov_b32_e32 v39, v44
	s_clause 0x3
	global_load_b64 v[8:9], v[8:9], off
	global_load_b64 v[20:21], v[18:19], off
	;; [unrolled: 1-line block ×4, first 2 shown]
	v_mad_u64_u32 v[40:41], null, s21, v34, v[32:33]
	v_add_nc_u32_e32 v52, 0x186, v46
	v_mov_b32_e32 v32, v49
	v_add_nc_u32_e32 v34, 0x1b3, v46
	v_lshlrev_b64 v[36:37], 3, v[36:37]
	v_lshlrev_b64 v[38:39], 3, v[38:39]
	v_mov_b32_e32 v43, v40
	v_mad_u64_u32 v[44:45], null, s20, v52, 0
	v_mad_u64_u32 v[49:50], null, s21, v51, v[32:33]
	;; [unrolled: 1-line block ×3, first 2 shown]
	v_add_co_u32 v36, s0, v33, v36
	s_delay_alu instid0(VALU_DEP_4) | instskip(SKIP_2) | instid1(VALU_DEP_3)
	v_mov_b32_e32 v32, v45
	v_add_co_ci_u32_e64 v37, s0, v35, v37, s0
	v_add_co_u32 v38, s0, v33, v38
	v_mad_u64_u32 v[40:41], null, s21, v52, v[32:33]
	v_mov_b32_e32 v32, v51
	v_lshlrev_b64 v[41:42], 3, v[42:43]
	v_lshlrev_b64 v[48:49], 3, v[48:49]
	v_add_co_ci_u32_e64 v39, s0, v35, v39, s0
	s_delay_alu instid0(VALU_DEP_4) | instskip(SKIP_2) | instid1(VALU_DEP_1)
	v_mad_u64_u32 v[51:52], null, s21, v34, v[32:33]
	v_mov_b32_e32 v45, v40
	v_add_co_u32 v40, s0, v33, v41
	v_add_co_ci_u32_e64 v41, s0, v35, v42, s0
	s_delay_alu instid0(VALU_DEP_3) | instskip(SKIP_1) | instid1(VALU_DEP_1)
	v_lshlrev_b64 v[42:43], 3, v[44:45]
	v_add_co_u32 v44, s0, v33, v48
	v_add_co_ci_u32_e64 v45, s0, v35, v49, s0
	v_lshlrev_b64 v[48:49], 3, v[50:51]
	s_delay_alu instid0(VALU_DEP_4) | instskip(NEXT) | instid1(VALU_DEP_1)
	v_add_co_u32 v42, s0, v33, v42
	v_add_co_ci_u32_e64 v43, s0, v35, v43, s0
	s_delay_alu instid0(VALU_DEP_3) | instskip(NEXT) | instid1(VALU_DEP_1)
	v_add_co_u32 v48, s0, v33, v48
	v_add_co_ci_u32_e64 v49, s0, v35, v49, s0
	s_clause 0x5
	global_load_b64 v[34:35], v[36:37], off
	global_load_b64 v[36:37], v[38:39], off
	;; [unrolled: 1-line block ×6, first 2 shown]
.LBB0_14:
	s_or_b32 exec_lo, exec_lo, s4
.LBB0_15:
	s_delay_alu instid0(SALU_CYCLE_1) | instskip(SKIP_4) | instid1(VALU_DEP_2)
	s_or_b32 exec_lo, exec_lo, s1
	s_waitcnt vmcnt(3)
	v_dual_add_f32 v44, v12, v0 :: v_dual_add_f32 v45, v26, v30
	s_waitcnt vmcnt(1)
	v_dual_sub_f32 v49, v13, v29 :: v_dual_sub_f32 v48, v31, v27
	v_dual_add_f32 v44, v30, v44 :: v_dual_and_b32 v47, 3, v47
	s_delay_alu instid0(VALU_DEP_3) | instskip(SKIP_3) | instid1(VALU_DEP_4)
	v_fma_f32 v52, -0.5, v45, v0
	v_dual_sub_f32 v45, v12, v30 :: v_dual_sub_f32 v70, v37, v33
	v_cmp_gt_u32_e64 s0, 15, v46
	v_add_f32_e32 v56, v10, v2
	v_dual_fmamk_f32 v54, v49, 0xbf737871, v52 :: v_dual_sub_f32 v53, v28, v26
	v_fmac_f32_e32 v52, 0x3f737871, v49
	s_waitcnt vmcnt(0)
	v_sub_f32_e32 v58, v14, v16
	v_sub_f32_e32 v60, v16, v14
	v_fmac_f32_e32 v54, 0xbf167918, v48
	v_add_f32_e32 v50, v28, v12
	v_add_f32_e32 v51, v26, v44
	v_mul_u32_u24_e32 v44, 0x1c2, v47
	v_add_f32_e32 v47, v53, v45
	s_delay_alu instid0(VALU_DEP_4) | instskip(NEXT) | instid1(VALU_DEP_4)
	v_dual_sub_f32 v45, v30, v12 :: v_dual_fmac_f32 v0, -0.5, v50
	v_dual_add_f32 v50, v28, v51 :: v_dual_sub_f32 v51, v26, v28
	s_delay_alu instid0(VALU_DEP_3) | instskip(NEXT) | instid1(VALU_DEP_3)
	v_dual_fmac_f32 v54, 0x3e9e377a, v47 :: v_dual_add_f32 v53, v16, v22
	v_fmamk_f32 v55, v48, 0x3f737871, v0
	s_delay_alu instid0(VALU_DEP_3) | instskip(SKIP_1) | instid1(VALU_DEP_3)
	v_dual_fmac_f32 v52, 0x3f167918, v48 :: v_dual_add_f32 v51, v51, v45
	v_dual_sub_f32 v57, v11, v15 :: v_dual_fmac_f32 v0, 0xbf737871, v48
	v_fmac_f32_e32 v55, 0xbf167918, v49
	v_fma_f32 v45, -0.5, v53, v2
	s_delay_alu instid0(VALU_DEP_4) | instskip(NEXT) | instid1(VALU_DEP_3)
	v_dual_fmac_f32 v52, 0x3e9e377a, v47 :: v_dual_add_f32 v47, v22, v56
	v_dual_sub_f32 v56, v23, v17 :: v_dual_fmac_f32 v55, 0x3e9e377a, v51
	s_delay_alu instid0(VALU_DEP_3) | instskip(NEXT) | instid1(VALU_DEP_3)
	v_dual_fmamk_f32 v48, v57, 0xbf737871, v45 :: v_dual_sub_f32 v53, v10, v22
	v_dual_fmac_f32 v0, 0x3f167918, v49 :: v_dual_add_f32 v47, v16, v47
	s_delay_alu instid0(VALU_DEP_2) | instskip(SKIP_1) | instid1(VALU_DEP_4)
	v_dual_add_f32 v49, v14, v10 :: v_dual_fmac_f32 v48, 0xbf167918, v56
	v_fmac_f32_e32 v45, 0x3f737871, v57
	v_add_f32_e32 v58, v58, v53
	s_delay_alu instid0(VALU_DEP_4) | instskip(NEXT) | instid1(VALU_DEP_4)
	v_dual_fmac_f32 v0, 0x3e9e377a, v51 :: v_dual_sub_f32 v59, v22, v10
	v_dual_fmac_f32 v2, -0.5, v49 :: v_dual_add_f32 v49, v14, v47
	s_delay_alu instid0(VALU_DEP_4) | instskip(NEXT) | instid1(VALU_DEP_4)
	v_fmac_f32_e32 v45, 0x3f167918, v56
	v_dual_fmac_f32 v48, 0x3e9e377a, v58 :: v_dual_add_f32 v47, v17, v23
	s_delay_alu instid0(VALU_DEP_3) | instskip(SKIP_1) | instid1(VALU_DEP_4)
	v_fmamk_f32 v53, v56, 0x3f737871, v2
	v_fmac_f32_e32 v2, 0xbf737871, v56
	v_dual_fmac_f32 v45, 0x3e9e377a, v58 :: v_dual_add_f32 v58, v60, v59
	s_delay_alu instid0(VALU_DEP_4) | instskip(SKIP_3) | instid1(VALU_DEP_3)
	v_fma_f32 v51, -0.5, v47, v3
	v_dual_sub_f32 v47, v10, v14 :: v_dual_add_f32 v14, v15, v11
	v_dual_fmac_f32 v53, 0xbf167918, v57 :: v_dual_sub_f32 v22, v22, v16
	v_sub_f32_e32 v16, v11, v23
	v_dual_fmamk_f32 v10, v47, 0x3f737871, v51 :: v_dual_sub_f32 v59, v17, v15
	v_dual_sub_f32 v56, v15, v17 :: v_dual_fmac_f32 v51, 0xbf737871, v47
	v_fma_f32 v14, -0.5, v14, v3
	v_fmac_f32_e32 v53, 0x3e9e377a, v58
	v_dual_fmac_f32 v2, 0x3f167918, v57 :: v_dual_sub_f32 v57, v23, v11
	v_fmac_f32_e32 v10, 0x3f167918, v22
	v_dual_add_f32 v56, v56, v16 :: v_dual_fmac_f32 v51, 0xbf167918, v22
	s_delay_alu instid0(VALU_DEP_3) | instskip(NEXT) | instid1(VALU_DEP_2)
	v_dual_fmamk_f32 v16, v22, 0xbf737871, v14 :: v_dual_add_f32 v57, v59, v57
	v_dual_add_f32 v59, v49, v50 :: v_dual_fmac_f32 v10, 0x3e9e377a, v56
	v_dual_sub_f32 v69, v25, v39 :: v_dual_fmac_f32 v2, 0x3e9e377a, v58
	s_delay_alu instid0(VALU_DEP_4) | instskip(SKIP_3) | instid1(VALU_DEP_4)
	v_fmac_f32_e32 v51, 0x3e9e377a, v56
	v_fmac_f32_e32 v14, 0x3f737871, v22
	;; [unrolled: 1-line block ×3, first 2 shown]
	v_dual_mul_f32 v22, 0xbf167918, v10 :: v_dual_sub_f32 v67, v38, v32
	v_mul_f32_e32 v58, 0xbf167918, v51
	v_dual_sub_f32 v71, v33, v39 :: v_dual_sub_f32 v64, v50, v49
	s_delay_alu instid0(VALU_DEP_3) | instskip(SKIP_1) | instid1(VALU_DEP_4)
	v_fmac_f32_e32 v22, 0x3f4f1bbd, v48
	v_fmac_f32_e32 v16, 0x3e9e377a, v57
	;; [unrolled: 1-line block ×3, first 2 shown]
	v_dual_fmac_f32 v14, 0xbf167918, v47 :: v_dual_add_f32 v47, v32, v36
	s_delay_alu instid0(VALU_DEP_4) | instskip(NEXT) | instid1(VALU_DEP_3)
	v_sub_f32_e32 v65, v54, v22
	v_add_f32_e32 v63, v52, v58
	v_sub_f32_e32 v68, v52, v58
	s_delay_alu instid0(VALU_DEP_4) | instskip(SKIP_3) | instid1(VALU_DEP_4)
	v_fma_f32 v47, -0.5, v47, v20
	v_sub_f32_e32 v50, v24, v36
	v_fmac_f32_e32 v14, 0x3e9e377a, v57
	v_mul_f32_e32 v56, 0xbf737871, v16
	v_dual_sub_f32 v58, v36, v32 :: v_dual_fmamk_f32 v49, v69, 0xbf737871, v47
	v_fmac_f32_e32 v47, 0x3f737871, v69
	s_delay_alu instid0(VALU_DEP_3) | instskip(NEXT) | instid1(VALU_DEP_3)
	v_fmac_f32_e32 v56, 0x3e9e377a, v53
	v_fmac_f32_e32 v49, 0xbf167918, v70
	s_delay_alu instid0(VALU_DEP_3) | instskip(NEXT) | instid1(VALU_DEP_3)
	v_fmac_f32_e32 v47, 0x3f167918, v70
	v_add_f32_e32 v61, v55, v56
	v_sub_f32_e32 v66, v55, v56
	v_add_f32_e32 v55, v67, v50
	v_mul_f32_e32 v57, 0xbf737871, v14
	s_delay_alu instid0(VALU_DEP_2) | instskip(NEXT) | instid1(VALU_DEP_2)
	v_fmac_f32_e32 v49, 0x3e9e377a, v55
	v_fmac_f32_e32 v57, 0xbe9e377a, v2
	;; [unrolled: 1-line block ×3, first 2 shown]
	s_delay_alu instid0(VALU_DEP_2) | instskip(SKIP_3) | instid1(VALU_DEP_3)
	v_dual_sub_f32 v67, v0, v57 :: v_dual_add_f32 v60, v54, v22
	v_add_f32_e32 v22, v38, v24
	v_add_f32_e32 v62, v0, v57
	;; [unrolled: 1-line block ×3, first 2 shown]
	v_fma_f32 v50, -0.5, v22, v20
	v_sub_f32_e32 v22, v36, v24
	s_delay_alu instid0(VALU_DEP_3) | instskip(SKIP_2) | instid1(VALU_DEP_2)
	v_fma_f32 v52, -0.5, v0, v21
	v_sub_f32_e32 v0, v24, v38
	v_sub_f32_e32 v56, v32, v38
	v_fmamk_f32 v55, v0, 0x3f737871, v52
	s_delay_alu instid0(VALU_DEP_2) | instskip(NEXT) | instid1(VALU_DEP_2)
	v_add_f32_e32 v22, v56, v22
	v_dual_fmac_f32 v55, 0x3f167918, v58 :: v_dual_add_f32 v56, v39, v25
	s_delay_alu instid0(VALU_DEP_1) | instskip(SKIP_3) | instid1(VALU_DEP_4)
	v_fma_f32 v57, -0.5, v56, v21
	v_fmamk_f32 v54, v70, 0x3f737871, v50
	v_fmac_f32_e32 v50, 0xbf737871, v70
	v_sub_f32_e32 v70, v39, v33
	v_fmamk_f32 v56, v58, 0xbf737871, v57
	v_fmac_f32_e32 v57, 0x3f737871, v58
	v_fmac_f32_e32 v54, 0xbf167918, v69
	;; [unrolled: 1-line block ×3, first 2 shown]
	v_sub_f32_e32 v69, v25, v37
	s_delay_alu instid0(VALU_DEP_4) | instskip(NEXT) | instid1(VALU_DEP_4)
	v_fmac_f32_e32 v57, 0xbf167918, v0
	v_fmac_f32_e32 v54, 0x3e9e377a, v22
	s_delay_alu instid0(VALU_DEP_4) | instskip(NEXT) | instid1(VALU_DEP_4)
	v_fmac_f32_e32 v50, 0x3e9e377a, v22
	v_add_f32_e32 v22, v70, v69
	v_sub_f32_e32 v69, v37, v25
	v_mul_u32_u24_e32 v70, 10, v46
	s_delay_alu instid0(VALU_DEP_3) | instskip(NEXT) | instid1(VALU_DEP_3)
	v_fmac_f32_e32 v55, 0x3e9e377a, v22
	v_add_f32_e32 v69, v71, v69
	s_delay_alu instid0(VALU_DEP_1) | instskip(SKIP_2) | instid1(VALU_DEP_2)
	v_fmac_f32_e32 v57, 0x3e9e377a, v69
	v_fmac_f32_e32 v52, 0xbf737871, v0
	;; [unrolled: 1-line block ×4, first 2 shown]
	v_lshl_add_u32 v58, v70, 2, 0
	s_delay_alu instid0(VALU_DEP_3) | instskip(NEXT) | instid1(VALU_DEP_3)
	v_fmac_f32_e32 v56, 0x3e9e377a, v69
	v_fmac_f32_e32 v52, 0x3e9e377a, v22
	s_delay_alu instid0(VALU_DEP_3)
	v_lshl_add_u32 v58, v44, 2, v58
	ds_store_2addr_b64 v58, v[59:60], v[61:62] offset1:1
	ds_store_2addr_b64 v58, v[63:64], v[65:66] offset0:2 offset1:3
	ds_store_b64 v58, v[67:68] offset:32
	s_and_saveexec_b32 s1, s0
	s_cbranch_execz .LBB0_17
; %bb.16:
	v_dual_add_f32 v0, v40, v34 :: v_dual_sub_f32 v61, v35, v41
	v_dual_sub_f32 v59, v18, v34 :: v_dual_sub_f32 v60, v19, v43
	v_dual_sub_f32 v64, v40, v42 :: v_dual_mul_f32 v71, 0xbf167918, v52
	s_delay_alu instid0(VALU_DEP_3) | instskip(SKIP_1) | instid1(VALU_DEP_3)
	v_fma_f32 v0, -0.5, v0, v8
	v_add_f32_e32 v22, v42, v18
	v_dual_add_f32 v20, v24, v20 :: v_dual_fmac_f32 v71, 0xbf4f1bbd, v47
	s_delay_alu instid0(VALU_DEP_3) | instskip(NEXT) | instid1(VALU_DEP_3)
	v_fmamk_f32 v69, v60, 0x3f737871, v0
	v_fma_f32 v22, -0.5, v22, v8
	v_add_f32_e32 v8, v18, v8
	v_sub_f32_e32 v62, v42, v40
	v_sub_f32_e32 v63, v34, v18
	v_fmac_f32_e32 v69, 0x3f167918, v61
	v_fmamk_f32 v70, v61, 0xbf737871, v22
	s_delay_alu instid0(VALU_DEP_4) | instskip(NEXT) | instid1(VALU_DEP_4)
	v_dual_fmac_f32 v0, 0xbf737871, v60 :: v_dual_add_f32 v59, v62, v59
	v_add_f32_e32 v62, v64, v63
	v_mul_f32_e32 v63, 0xbf167918, v55
	s_delay_alu instid0(VALU_DEP_4)
	v_fmac_f32_e32 v70, 0x3f167918, v60
	v_add_f32_e32 v8, v34, v8
	v_add_f32_e32 v20, v36, v20
	v_mul_f32_e32 v36, 0xbf737871, v56
	v_fmac_f32_e32 v63, 0x3f4f1bbd, v49
	v_dual_fmac_f32 v69, 0x3e9e377a, v59 :: v_dual_fmac_f32 v70, 0x3e9e377a, v62
	v_fmac_f32_e32 v0, 0xbf167918, v61
	v_add_f32_e32 v8, v40, v8
	v_add_f32_e32 v20, v32, v20
	v_fmac_f32_e32 v36, 0x3e9e377a, v54
	s_delay_alu instid0(VALU_DEP_4) | instskip(SKIP_2) | instid1(VALU_DEP_3)
	v_fmac_f32_e32 v0, 0x3e9e377a, v59
	v_fmac_f32_e32 v22, 0x3f737871, v61
	v_add_f32_e32 v8, v42, v8
	v_dual_add_f32 v20, v38, v20 :: v_dual_sub_f32 v61, v0, v63
	s_delay_alu instid0(VALU_DEP_3) | instskip(SKIP_2) | instid1(VALU_DEP_4)
	v_fmac_f32_e32 v22, 0xbf167918, v60
	v_add_f32_e32 v68, v0, v63
	v_add_f32_e32 v63, v69, v71
	;; [unrolled: 1-line block ×3, first 2 shown]
	v_sub_f32_e32 v64, v8, v20
	v_fmac_f32_e32 v22, 0x3e9e377a, v62
	v_mul_f32_e32 v24, 0xbf737871, v57
	s_delay_alu instid0(VALU_DEP_2) | instskip(NEXT) | instid1(VALU_DEP_2)
	v_dual_sub_f32 v60, v69, v71 :: v_dual_add_f32 v65, v22, v36
	v_fmac_f32_e32 v24, 0xbe9e377a, v50
	v_sub_f32_e32 v62, v22, v36
	s_delay_alu instid0(VALU_DEP_2)
	v_add_f32_e32 v66, v70, v24
	v_sub_f32_e32 v59, v70, v24
	ds_store_2addr_b64 v58, v[67:68], v[65:66] offset0:150 offset1:151
	ds_store_2addr_b64 v58, v[63:64], v[61:62] offset0:152 offset1:153
	ds_store_b64 v58, v[59:60] offset:1232
.LBB0_17:
	s_or_b32 exec_lo, exec_lo, s1
	v_dual_add_f32 v22, v29, v13 :: v_dual_add_f32 v3, v11, v3
	v_add_f32_e32 v0, v13, v1
	v_sub_f32_e32 v26, v30, v26
	v_sub_f32_e32 v12, v12, v28
	;; [unrolled: 1-line block ×3, first 2 shown]
	v_add_f32_e32 v3, v23, v3
	v_add_f32_e32 v8, v27, v31
	v_mul_f32_e32 v48, 0x3f167918, v48
	s_waitcnt lgkmcnt(0)
	s_barrier
	v_add_f32_e32 v11, v17, v3
	v_fma_f32 v8, -0.5, v8, v1
	v_dual_fmac_f32 v1, -0.5, v22 :: v_dual_add_f32 v0, v31, v0
	v_mul_f32_e32 v53, 0x3f737871, v53
	v_fmac_f32_e32 v48, 0x3f4f1bbd, v10
	v_add_f32_e32 v60, v15, v11
	s_delay_alu instid0(VALU_DEP_4)
	v_fmamk_f32 v62, v26, 0xbf737871, v1
	v_dual_add_f32 v0, v27, v0 :: v_dual_fmac_f32 v1, 0x3f737871, v26
	v_dual_sub_f32 v20, v13, v31 :: v_dual_lshlrev_b32 v3, 2, v44
	v_fmac_f32_e32 v53, 0x3e9e377a, v16
	buffer_gl0_inv
	v_add_f32_e32 v20, v24, v20
	v_add_f32_e32 v24, v29, v0
	v_sub_f32_e32 v0, v31, v13
	v_dual_sub_f32 v13, v27, v29 :: v_dual_fmamk_f32 v38, v12, 0x3f737871, v8
	v_fmac_f32_e32 v62, 0x3f167918, v12
	v_fmac_f32_e32 v1, 0xbf167918, v12
	s_delay_alu instid0(VALU_DEP_3) | instskip(NEXT) | instid1(VALU_DEP_4)
	v_add_f32_e32 v0, v13, v0
	v_fmac_f32_e32 v38, 0x3f167918, v26
	s_delay_alu instid0(VALU_DEP_2) | instskip(NEXT) | instid1(VALU_DEP_2)
	v_dual_mul_f32 v13, 0x3e9e377a, v14 :: v_dual_fmac_f32 v62, 0x3e9e377a, v0
	v_fmac_f32_e32 v38, 0x3e9e377a, v20
	v_dual_fmac_f32 v1, 0x3e9e377a, v0 :: v_dual_lshlrev_b32 v0, 2, v46
	s_delay_alu instid0(VALU_DEP_3) | instskip(SKIP_1) | instid1(VALU_DEP_4)
	v_fma_f32 v2, 0x3f737871, v2, -v13
	v_fmac_f32_e32 v8, 0xbf737871, v12
	v_sub_f32_e32 v61, v38, v48
	v_add_f32_e32 v13, v38, v48
	v_add_nc_u32_e32 v12, 0, v0
	v_add3_u32 v36, 0, v3, v0
	v_add_f32_e32 v44, v62, v53
	v_add_nc_u32_e32 v38, 30, v46
	v_sub_f32_e32 v62, v62, v53
	v_add_nc_u32_e32 v32, v12, v3
	v_mul_f32_e32 v12, 0x3f4f1bbd, v51
	s_delay_alu instid0(VALU_DEP_2) | instskip(NEXT) | instid1(VALU_DEP_2)
	v_add_nc_u32_e32 v0, 0x400, v32
	v_fma_f32 v51, 0x3f167918, v45, -v12
	v_add_f32_e32 v45, v1, v2
	v_fmac_f32_e32 v8, 0xbf167918, v26
	s_delay_alu instid0(VALU_DEP_1)
	v_dual_sub_f32 v1, v1, v2 :: v_dual_fmac_f32 v8, 0x3e9e377a, v20
	ds_load_b32 v20, v36
	ds_load_2addr_b32 v[30:31], v32 offset0:90 offset1:120
	ds_load_2addr_b32 v[22:23], v32 offset0:150 offset1:180
	;; [unrolled: 1-line block ×7, first 2 shown]
	s_waitcnt lgkmcnt(0)
	s_barrier
	buffer_gl0_inv
	v_add_f32_e32 v59, v8, v51
	v_add_f32_e32 v12, v60, v24
	v_sub_f32_e32 v60, v24, v60
	v_sub_f32_e32 v2, v8, v51
	ds_store_2addr_b64 v58, v[12:13], v[44:45] offset1:1
	ds_store_2addr_b64 v58, v[59:60], v[61:62] offset0:2 offset1:3
	ds_store_b64 v58, v[1:2] offset:32
	s_and_saveexec_b32 s1, s0
	s_cbranch_execz .LBB0_19
; %bb.18:
	v_dual_add_f32 v1, v19, v9 :: v_dual_add_f32 v2, v41, v35
	v_sub_f32_e32 v8, v18, v42
	v_dual_sub_f32 v12, v34, v40 :: v_dual_add_f32 v13, v43, v19
	s_delay_alu instid0(VALU_DEP_3) | instskip(NEXT) | instid1(VALU_DEP_4)
	v_add_f32_e32 v1, v35, v1
	v_fma_f32 v34, -0.5, v2, v9
	v_sub_f32_e32 v2, v19, v35
	v_sub_f32_e32 v18, v43, v41
	v_add_f32_e32 v21, v25, v21
	s_delay_alu instid0(VALU_DEP_4) | instskip(SKIP_1) | instid1(VALU_DEP_4)
	v_dual_add_f32 v1, v41, v1 :: v_dual_fmamk_f32 v24, v8, 0x3f737871, v34
	v_dual_fmac_f32 v9, -0.5, v13 :: v_dual_fmac_f32 v34, 0xbf737871, v8
	v_dual_sub_f32 v13, v41, v43 :: v_dual_add_f32 v2, v18, v2
	s_delay_alu instid0(VALU_DEP_4) | instskip(NEXT) | instid1(VALU_DEP_4)
	v_add_f32_e32 v18, v37, v21
	v_dual_add_f32 v25, v43, v1 :: v_dual_fmac_f32 v24, 0x3f167918, v12
	s_delay_alu instid0(VALU_DEP_4) | instskip(SKIP_3) | instid1(VALU_DEP_4)
	v_dual_sub_f32 v1, v35, v19 :: v_dual_fmamk_f32 v40, v12, 0xbf737871, v9
	v_fmac_f32_e32 v9, 0x3f737871, v12
	v_fmac_f32_e32 v34, 0xbf167918, v12
	v_add_f32_e32 v12, v33, v18
	v_dual_add_f32 v1, v13, v1 :: v_dual_fmac_f32 v40, 0x3f167918, v8
	v_mul_f32_e32 v21, 0x3f167918, v49
	v_fmac_f32_e32 v9, 0xbf167918, v8
	s_delay_alu instid0(VALU_DEP_4) | instskip(SKIP_2) | instid1(VALU_DEP_4)
	v_dual_add_f32 v8, v39, v12 :: v_dual_mul_f32 v33, 0x3f737871, v54
	v_fmac_f32_e32 v24, 0x3e9e377a, v2
	v_mul_u32_u24_e32 v18, 10, v38
	v_fmac_f32_e32 v9, 0x3e9e377a, v1
	v_fmac_f32_e32 v40, 0x3e9e377a, v1
	v_dual_add_f32 v1, v8, v25 :: v_dual_fmac_f32 v34, 0x3e9e377a, v2
	v_dual_fmac_f32 v33, 0x3e9e377a, v56 :: v_dual_mul_f32 v2, 0x3e9e377a, v57
	v_dual_mul_f32 v12, 0x3f4f1bbd, v52 :: v_dual_lshlrev_b32 v39, 2, v18
	v_fmac_f32_e32 v21, 0x3f4f1bbd, v55
	v_sub_f32_e32 v19, v25, v8
	s_delay_alu instid0(VALU_DEP_4) | instskip(NEXT) | instid1(VALU_DEP_4)
	v_fma_f32 v35, 0x3f737871, v50, -v2
	v_fma_f32 v37, 0x3f167918, v47, -v12
	s_delay_alu instid0(VALU_DEP_4) | instskip(NEXT) | instid1(VALU_DEP_3)
	v_add_f32_e32 v2, v24, v21
	v_dual_sub_f32 v24, v24, v21 :: v_dual_add_f32 v13, v9, v35
	v_add_f32_e32 v12, v40, v33
	v_add3_u32 v21, 0, v39, v3
	v_add_f32_e32 v18, v34, v37
	v_dual_sub_f32 v25, v40, v33 :: v_dual_sub_f32 v8, v9, v35
	v_sub_f32_e32 v9, v34, v37
	ds_store_2addr_b64 v21, v[1:2], v[12:13] offset1:1
	ds_store_2addr_b64 v21, v[18:19], v[24:25] offset0:2 offset1:3
	ds_store_b64 v21, v[8:9] offset:32
.LBB0_19:
	s_or_b32 exec_lo, exec_lo, s1
	v_dual_mov_b32 v9, 0 :: v_dual_and_b32 v2, 0xff, v38
	v_and_b32_e32 v1, 0xff, v46
	s_waitcnt lgkmcnt(0)
	s_barrier
	buffer_gl0_inv
	v_mov_b32_e32 v76, v9
	v_mul_lo_u16 v1, 0xcd, v1
	v_subrev_nc_u32_e32 v75, 20, v46
	v_cmp_gt_u32_e64 s0, 20, v46
	s_delay_alu instid0(VALU_DEP_3) | instskip(SKIP_1) | instid1(VALU_DEP_3)
	v_lshrrev_b16 v19, 11, v1
	v_mul_lo_u16 v1, 0xcd, v2
	v_cndmask_b32_e64 v81, v75, v38, s0
	s_delay_alu instid0(VALU_DEP_3) | instskip(NEXT) | instid1(VALU_DEP_3)
	v_mul_lo_u16 v2, v19, 10
	v_lshrrev_b16 v21, 11, v1
	s_delay_alu instid0(VALU_DEP_2) | instskip(NEXT) | instid1(VALU_DEP_2)
	v_sub_nc_u16 v1, v46, v2
	v_mul_lo_u16 v2, v21, 10
	s_delay_alu instid0(VALU_DEP_2) | instskip(NEXT) | instid1(VALU_DEP_2)
	v_and_b32_e32 v37, 0xff, v1
	v_sub_nc_u16 v1, v38, v2
	s_delay_alu instid0(VALU_DEP_2)
	v_lshlrev_b32_e32 v2, 5, v37
	s_clause 0x1
	global_load_b128 v[39:42], v2, s[8:9]
	global_load_b128 v[47:50], v2, s[8:9] offset:16
	v_add_nc_u32_e32 v33, 60, v46
	v_and_b32_e32 v45, 0xff, v1
	v_lshlrev_b32_e32 v75, 1, v81
	s_delay_alu instid0(VALU_DEP_3) | instskip(NEXT) | instid1(VALU_DEP_1)
	v_and_b32_e32 v8, 0xff, v33
	v_mul_lo_u16 v1, 0xcd, v8
	s_delay_alu instid0(VALU_DEP_4)
	v_lshlrev_b32_e32 v8, 5, v45
	s_clause 0x1
	global_load_b128 v[51:54], v8, s[8:9]
	global_load_b128 v[55:58], v8, s[8:9] offset:16
	v_lshrrev_b16 v79, 11, v1
	v_and_b32_e32 v21, 0xffff, v21
	v_lshlrev_b32_e32 v45, 2, v45
	s_delay_alu instid0(VALU_DEP_3) | instskip(SKIP_1) | instid1(VALU_DEP_2)
	v_mul_lo_u16 v1, v79, 10
	v_and_b32_e32 v79, 0xffff, v79
	v_sub_nc_u16 v1, v33, v1
	s_delay_alu instid0(VALU_DEP_1) | instskip(NEXT) | instid1(VALU_DEP_1)
	v_and_b32_e32 v80, 0xff, v1
	v_lshlrev_b32_e32 v1, 5, v80
	s_clause 0x1
	global_load_b128 v[59:62], v1, s[8:9]
	global_load_b128 v[63:66], v1, s[8:9] offset:16
	ds_load_b32 v18, v36
	ds_load_2addr_b32 v[24:25], v32 offset0:90 offset1:120
	ds_load_2addr_b32 v[34:35], v32 offset0:150 offset1:180
	;; [unrolled: 1-line block ×7, first 2 shown]
	v_and_b32_e32 v19, 0xffff, v19
	v_add_nc_u32_e32 v1, 0x5a, v46
	s_waitcnt vmcnt(0) lgkmcnt(0)
	s_barrier
	buffer_gl0_inv
	v_mul_f32_e32 v84, v68, v50
	v_mul_f32_e32 v50, v15, v50
	v_lshlrev_b64 v[75:76], 3, v[75:76]
	s_delay_alu instid0(VALU_DEP_3) | instskip(NEXT) | instid1(VALU_DEP_3)
	v_fmac_f32_e32 v84, v15, v49
	v_fma_f32 v15, v68, v49, -v50
	v_mul_f32_e32 v86, v71, v54
	v_mul_f32_e32 v54, v26, v54
	v_mad_u32_u24 v21, 0xc8, v21, 0
	v_mad_u32_u24 v19, 0xc8, v19, 0
	v_mul_f32_e32 v87, v44, v56
	v_lshlrev_b32_e32 v80, 2, v80
	v_mul_f32_e32 v56, v29, v56
	v_mad_u32_u24 v79, 0xc8, v79, 0
	v_add3_u32 v21, v21, v45, v3
	v_fmac_f32_e32 v87, v29, v55
	v_mul_f32_e32 v45, v24, v40
	v_dual_mul_f32 v40, v30, v40 :: v_dual_lshlrev_b32 v37, 2, v37
	v_dual_mul_f32 v85, v25, v52 :: v_dual_add_nc_u32 v2, 0x78, v46
	s_delay_alu instid0(VALU_DEP_3) | instskip(NEXT) | instid1(VALU_DEP_3)
	v_dual_fmac_f32 v45, v30, v39 :: v_dual_mul_f32 v30, v73, v58
	v_add3_u32 v19, v19, v37, v3
	v_add3_u32 v37, v79, v80, v3
	v_mul_f32_e32 v79, v35, v42
	v_lshlrev_b32_e32 v8, 1, v46
	v_mul_f32_e32 v42, v23, v42
	v_mul_f32_e32 v80, v43, v48
	s_delay_alu instid0(VALU_DEP_4) | instskip(NEXT) | instid1(VALU_DEP_4)
	v_dual_mul_f32 v48, v28, v48 :: v_dual_fmac_f32 v79, v23, v41
	v_lshlrev_b64 v[12:13], 3, v[8:9]
	v_add_nc_u32_e32 v8, 20, v8
	v_dual_fmac_f32 v85, v31, v51 :: v_dual_and_b32 v82, 0xff, v1
	v_fma_f32 v23, v35, v41, -v42
	v_mul_f32_e32 v35, v16, v58
	s_delay_alu instid0(VALU_DEP_4) | instskip(NEXT) | instid1(VALU_DEP_4)
	v_lshlrev_b64 v[77:78], 3, v[8:9]
	v_mul_lo_u16 v8, v82, 41
	v_dual_mul_f32 v52, v31, v52 :: v_dual_and_b32 v83, 0xff, v2
	v_fma_f32 v24, v24, v39, -v40
	v_fmac_f32_e32 v80, v28, v47
	s_delay_alu instid0(VALU_DEP_4) | instskip(NEXT) | instid1(VALU_DEP_4)
	v_lshrrev_b16 v8, 11, v8
	v_mul_lo_u16 v82, v83, 41
	v_fma_f32 v28, v43, v47, -v48
	v_fma_f32 v25, v25, v51, -v52
	v_dual_fmac_f32 v86, v26, v53 :: v_dual_mul_f32 v39, v72, v62
	v_mul_lo_u16 v83, v8, 50
	v_fma_f32 v26, v71, v53, -v54
	v_fma_f32 v29, v44, v55, -v56
	v_dual_fmac_f32 v30, v16, v57 :: v_dual_mul_f32 v31, v34, v60
	s_delay_alu instid0(VALU_DEP_4) | instskip(SKIP_3) | instid1(VALU_DEP_4)
	v_sub_nc_u16 v83, v1, v83
	v_fma_f32 v16, v73, v57, -v35
	v_dual_mul_f32 v35, v22, v60 :: v_dual_mul_f32 v40, v27, v62
	v_dual_mul_f32 v41, v67, v64 :: v_dual_mul_f32 v44, v17, v66
	v_dual_mul_f32 v42, v14, v64 :: v_dual_and_b32 v83, 0xff, v83
	v_fmac_f32_e32 v39, v27, v61
	v_mul_f32_e32 v43, v74, v66
	v_fmac_f32_e32 v31, v22, v59
	v_fma_f32 v22, v34, v59, -v35
	v_fma_f32 v27, v72, v61, -v40
	v_dual_fmac_f32 v41, v14, v63 :: v_dual_add_f32 v48, v45, v84
	v_fma_f32 v14, v67, v63, -v42
	v_add_f32_e32 v34, v20, v45
	v_dual_fmac_f32 v43, v17, v65 :: v_dual_sub_f32 v40, v24, v15
	v_fma_f32 v17, v74, v65, -v44
	v_dual_add_f32 v35, v79, v80 :: v_dual_sub_f32 v44, v45, v79
	v_dual_sub_f32 v47, v84, v80 :: v_dual_add_f32 v58, v10, v85
	v_dual_sub_f32 v49, v79, v45 :: v_dual_sub_f32 v50, v80, v84
	v_dual_add_f32 v51, v18, v24 :: v_dual_sub_f32 v54, v24, v23
	v_dual_add_f32 v52, v23, v28 :: v_dual_sub_f32 v57, v28, v15
	v_dual_sub_f32 v45, v45, v84 :: v_dual_add_f32 v56, v24, v15
	v_dual_sub_f32 v53, v79, v80 :: v_dual_sub_f32 v62, v85, v86
	v_dual_sub_f32 v55, v15, v28 :: v_dual_add_f32 v64, v85, v30
	v_dual_sub_f32 v24, v23, v24 :: v_dual_add_f32 v59, v86, v87
	v_dual_sub_f32 v63, v30, v87 :: v_dual_sub_f32 v66, v87, v30
	v_dual_sub_f32 v65, v86, v85 :: v_dual_sub_f32 v88, v29, v16
	v_dual_add_f32 v67, v69, v25 :: v_dual_sub_f32 v72, v86, v87
	v_dual_add_f32 v68, v26, v29 :: v_dual_sub_f32 v71, v85, v30
	v_sub_f32_e32 v42, v23, v28
	v_dual_sub_f32 v60, v25, v16 :: v_dual_sub_f32 v61, v26, v29
	v_dual_sub_f32 v73, v25, v26 :: v_dual_sub_f32 v74, v16, v29
	v_dual_add_f32 v85, v25, v16 :: v_dual_add_f32 v34, v34, v79
	v_dual_sub_f32 v25, v26, v25 :: v_dual_add_f32 v44, v44, v47
	v_fma_f32 v35, -0.5, v35, v20
	v_dual_fmac_f32 v20, -0.5, v48 :: v_dual_add_f32 v47, v49, v50
	v_add_f32_e32 v23, v51, v23
	v_fma_f32 v79, -0.5, v52, v18
	v_fmac_f32_e32 v18, -0.5, v56
	v_dual_add_f32 v48, v54, v55 :: v_dual_add_f32 v55, v73, v74
	v_dual_add_f32 v24, v24, v57 :: v_dual_add_f32 v49, v58, v86
	v_fma_f32 v50, -0.5, v59, v10
	v_dual_add_f32 v51, v62, v63 :: v_dual_add_f32 v52, v65, v66
	v_dual_add_f32 v26, v67, v26 :: v_dual_add_f32 v25, v25, v88
	v_fma_f32 v54, -0.5, v68, v69
	v_dual_add_f32 v57, v11, v31 :: v_dual_add_f32 v68, v70, v22
	v_dual_add_f32 v58, v39, v41 :: v_dual_sub_f32 v67, v41, v43
	v_dual_add_f32 v65, v31, v43 :: v_dual_sub_f32 v88, v14, v17
	v_fma_f32 v10, -0.5, v64, v10
	v_fma_f32 v56, -0.5, v85, v69
	v_dual_sub_f32 v59, v22, v17 :: v_dual_sub_f32 v62, v27, v14
	v_dual_sub_f32 v63, v31, v39 :: v_dual_add_f32 v86, v22, v17
	v_dual_sub_f32 v64, v43, v41 :: v_dual_sub_f32 v85, v17, v14
	v_sub_f32_e32 v66, v39, v31
	v_dual_add_f32 v69, v27, v14 :: v_dual_sub_f32 v74, v22, v27
	v_dual_sub_f32 v31, v31, v43 :: v_dual_add_f32 v34, v34, v80
	v_dual_sub_f32 v73, v39, v41 :: v_dual_fmamk_f32 v80, v40, 0xbf737871, v35
	v_dual_sub_f32 v22, v27, v22 :: v_dual_fmamk_f32 v89, v42, 0x3f737871, v20
	v_dual_fmac_f32 v20, 0xbf737871, v42 :: v_dual_add_f32 v23, v23, v28
	v_fmamk_f32 v28, v45, 0x3f737871, v79
	v_dual_fmac_f32 v79, 0xbf737871, v45 :: v_dual_fmamk_f32 v90, v53, 0xbf737871, v18
	v_dual_fmac_f32 v18, 0x3f737871, v53 :: v_dual_add_f32 v49, v49, v87
	v_dual_fmamk_f32 v87, v60, 0xbf737871, v50 :: v_dual_add_f32 v26, v26, v29
	v_dual_fmac_f32 v50, 0x3f737871, v60 :: v_dual_add_f32 v39, v57, v39
	v_fmamk_f32 v29, v71, 0x3f737871, v54
	v_fmac_f32_e32 v54, 0xbf737871, v71
	v_fma_f32 v57, -0.5, v58, v11
	v_fmac_f32_e32 v11, -0.5, v65
	v_fmac_f32_e32 v35, 0x3f737871, v40
	v_dual_fmamk_f32 v91, v61, 0x3f737871, v10 :: v_dual_add_f32 v58, v63, v64
	v_dual_fmac_f32 v10, 0xbf737871, v61 :: v_dual_add_f32 v63, v66, v67
	v_dual_fmamk_f32 v92, v72, 0xbf737871, v56 :: v_dual_add_f32 v65, v74, v85
	v_dual_fmac_f32 v56, 0x3f737871, v72 :: v_dual_add_f32 v27, v68, v27
	v_fma_f32 v64, -0.5, v69, v70
	v_dual_fmac_f32 v70, -0.5, v86 :: v_dual_fmac_f32 v89, 0xbf167918, v40
	v_dual_add_f32 v34, v34, v84 :: v_dual_add_f32 v15, v23, v15
	v_dual_fmac_f32 v20, 0x3f167918, v40 :: v_dual_add_f32 v23, v49, v30
	v_dual_fmac_f32 v18, 0xbf167918, v45 :: v_dual_fmac_f32 v91, 0xbf167918, v60
	v_dual_fmac_f32 v87, 0xbf167918, v61 :: v_dual_add_f32 v16, v26, v16
	v_add_f32_e32 v26, v39, v41
	v_fmamk_f32 v30, v59, 0xbf737871, v57
	v_fmac_f32_e32 v57, 0x3f737871, v59
	v_fmac_f32_e32 v90, 0x3f167918, v45
	v_dual_fmamk_f32 v39, v62, 0x3f737871, v11 :: v_dual_add_f32 v14, v27, v14
	v_fmac_f32_e32 v11, 0xbf737871, v62
	v_dual_fmac_f32 v80, 0xbf167918, v42 :: v_dual_fmac_f32 v79, 0xbf167918, v53
	v_dual_fmac_f32 v28, 0x3f167918, v53 :: v_dual_fmac_f32 v29, 0x3f167918, v72
	s_delay_alu instid0(VALU_DEP_4)
	v_dual_fmac_f32 v54, 0xbf167918, v72 :: v_dual_fmac_f32 v39, 0xbf167918, v59
	v_fmac_f32_e32 v92, 0x3f167918, v71
	v_fmamk_f32 v27, v31, 0x3f737871, v64
	v_fmac_f32_e32 v64, 0xbf737871, v31
	v_dual_fmac_f32 v50, 0x3f167918, v61 :: v_dual_fmac_f32 v11, 0x3f167918, v59
	v_fmamk_f32 v40, v73, 0xbf737871, v70
	v_fmac_f32_e32 v70, 0x3f737871, v73
	v_fmac_f32_e32 v57, 0x3f167918, v62
	v_dual_fmac_f32 v90, 0x3e9e377a, v24 :: v_dual_fmac_f32 v29, 0x3e9e377a, v55
	v_fmac_f32_e32 v18, 0x3e9e377a, v24
	s_delay_alu instid0(VALU_DEP_3)
	v_dual_add_f32 v24, v26, v43 :: v_dual_fmac_f32 v57, 0x3e9e377a, v58
	v_dual_fmac_f32 v10, 0x3f167918, v60 :: v_dual_fmac_f32 v27, 0x3f167918, v73
	v_dual_add_f32 v22, v22, v88 :: v_dual_fmac_f32 v35, 0x3f167918, v42
	v_add_co_u32 v12, s0, s8, v12
	v_fmac_f32_e32 v30, 0xbf167918, v62
	v_dual_fmac_f32 v80, 0x3e9e377a, v44 :: v_dual_fmac_f32 v89, 0x3e9e377a, v47
	v_dual_fmac_f32 v10, 0x3e9e377a, v52 :: v_dual_fmac_f32 v39, 0x3e9e377a, v63
	;; [unrolled: 1-line block ×3, first 2 shown]
	v_fmac_f32_e32 v70, 0xbf167918, v31
	v_lshlrev_b32_e32 v63, 2, v83
	v_fmac_f32_e32 v40, 0x3f167918, v31
	v_add_co_ci_u32_e64 v13, s0, s9, v13, s0
	v_dual_fmac_f32 v35, 0x3e9e377a, v44 :: v_dual_fmac_f32 v20, 0x3e9e377a, v47
	v_add_co_u32 v75, s0, s8, v75
	v_dual_fmac_f32 v28, 0x3e9e377a, v48 :: v_dual_fmac_f32 v87, 0x3e9e377a, v51
	v_lshrrev_b16 v82, 11, v82
	v_add_co_ci_u32_e64 v76, s0, s9, v76, s0
	v_dual_fmac_f32 v79, 0x3e9e377a, v48 :: v_dual_fmac_f32 v50, 0x3e9e377a, v51
	v_dual_fmac_f32 v91, 0x3e9e377a, v52 :: v_dual_fmac_f32 v54, 0x3e9e377a, v55
	;; [unrolled: 1-line block ×3, first 2 shown]
	v_fmac_f32_e32 v40, 0x3e9e377a, v22
	ds_store_2addr_b32 v19, v34, v80 offset1:10
	ds_store_2addr_b32 v19, v89, v20 offset0:20 offset1:30
	ds_store_b32 v19, v35 offset:160
	ds_store_2addr_b32 v21, v23, v87 offset1:10
	ds_store_2addr_b32 v21, v91, v10 offset0:20 offset1:30
	ds_store_b32 v21, v50 offset:160
	ds_store_2addr_b32 v37, v24, v30 offset1:10
	ds_store_2addr_b32 v37, v39, v11 offset0:20 offset1:30
	ds_store_b32 v37, v57 offset:160
	s_waitcnt lgkmcnt(0)
	s_barrier
	buffer_gl0_inv
	ds_load_b32 v45, v36
	ds_load_2addr_b32 v[10:11], v32 offset0:150 offset1:180
	ds_load_2addr_b32 v[30:31], v0 offset0:14 offset1:44
	;; [unrolled: 1-line block ×7, first 2 shown]
	v_fmac_f32_e32 v70, 0x3e9e377a, v22
	v_add_co_u32 v22, s0, s8, v77
	s_delay_alu instid0(VALU_DEP_1)
	v_add_co_ci_u32_e64 v23, s0, s9, v78, s0
	v_cmp_lt_u32_e64 s0, 19, v46
	v_mul_lo_u16 v82, v82, 50
	v_fmac_f32_e32 v64, 0xbf167918, v73
	s_waitcnt lgkmcnt(0)
	s_barrier
	v_cndmask_b32_e64 v53, 0, 0x258, s0
	v_fmac_f32_e32 v56, 0xbf167918, v71
	v_sub_nc_u16 v82, v2, v82
	v_add_f32_e32 v14, v14, v17
	v_fmac_f32_e32 v64, 0x3e9e377a, v65
	v_add_nc_u32_e32 v61, 0, v53
	v_fmac_f32_e32 v56, 0x3e9e377a, v25
	buffer_gl0_inv
	ds_store_2addr_b32 v19, v15, v28 offset1:10
	ds_store_2addr_b32 v19, v90, v18 offset0:20 offset1:30
	ds_store_b32 v19, v79 offset:160
	ds_store_2addr_b32 v21, v16, v29 offset1:10
	ds_store_2addr_b32 v21, v92, v56 offset0:20 offset1:30
	ds_store_b32 v21, v54 offset:160
	ds_store_2addr_b32 v37, v14, v27 offset1:10
	ds_store_2addr_b32 v37, v40, v70 offset0:20 offset1:30
	ds_store_b32 v37, v64 offset:160
	v_and_b32_e32 v37, 0xff, v82
	v_lshlrev_b32_e32 v26, 4, v83
	s_waitcnt lgkmcnt(0)
	s_barrier
	buffer_gl0_inv
	v_lshlrev_b32_e32 v39, 4, v37
	s_clause 0x4
	global_load_b128 v[14:17], v[12:13], off offset:320
	global_load_b128 v[22:25], v[22:23], off offset:320
	;; [unrolled: 1-line block ×3, first 2 shown]
	global_load_b128 v[26:29], v26, s[8:9] offset:320
	global_load_b128 v[39:42], v39, s[8:9] offset:320
	ds_load_2addr_b32 v[59:60], v32 offset0:210 offset1:240
	ds_load_2addr_b32 v[53:54], v32 offset0:150 offset1:180
	;; [unrolled: 1-line block ×3, first 2 shown]
	v_and_b32_e32 v8, 0xffff, v8
	ds_load_2addr_b32 v[57:58], v0 offset0:74 offset1:104
	v_lshlrev_b32_e32 v37, 2, v37
	v_lshlrev_b32_e32 v62, 2, v81
	s_delay_alu instid0(VALU_DEP_2)
	v_add3_u32 v37, 0, v37, v3
	s_waitcnt vmcnt(4) lgkmcnt(2)
	v_mul_f32_e32 v69, v53, v15
	v_mul_f32_e32 v15, v10, v15
	s_waitcnt vmcnt(1)
	v_mul_f32_e32 v75, v60, v27
	v_mul_f32_e32 v27, v48, v27
	v_mad_u32_u24 v8, 0x258, v8, 0
	v_add3_u32 v67, v61, v62, v3
	s_waitcnt lgkmcnt(1)
	v_dual_mul_f32 v70, v56, v17 :: v_dual_fmac_f32 v69, v10, v14
	v_mul_f32_e32 v17, v31, v17
	v_add3_u32 v3, v8, v63, v3
	ds_load_b32 v68, v36
	ds_load_2addr_b32 v[61:62], v0 offset0:134 offset1:164
	ds_load_2addr_b32 v[63:64], v32 offset0:30 offset1:60
	;; [unrolled: 1-line block ×3, first 2 shown]
	v_mul_f32_e32 v71, v54, v19
	s_waitcnt lgkmcnt(4)
	v_dual_mul_f32 v19, v11, v19 :: v_dual_mul_f32 v72, v57, v21
	v_mul_f32_e32 v21, v43, v21
	s_waitcnt vmcnt(0)
	v_dual_mul_f32 v77, v55, v40 :: v_dual_add_nc_u32 v8, 0x400, v37
	v_mul_f32_e32 v73, v59, v23
	v_dual_mul_f32 v23, v47, v23 :: v_dual_mul_f32 v74, v58, v25
	v_mul_f32_e32 v25, v44, v25
	v_fma_f32 v10, v53, v14, -v15
	s_delay_alu instid0(VALU_DEP_4)
	v_fmac_f32_e32 v73, v47, v22
	v_fma_f32 v14, v56, v16, -v17
	v_fmac_f32_e32 v70, v31, v16
	v_fmac_f32_e32 v71, v11, v18
	v_fma_f32 v11, v54, v18, -v19
	v_fma_f32 v15, v57, v20, -v21
	s_waitcnt lgkmcnt(2)
	v_dual_mul_f32 v76, v61, v29 :: v_dual_fmac_f32 v75, v48, v26
	v_dual_mul_f32 v29, v51, v29 :: v_dual_mul_f32 v78, v62, v42
	v_dual_mul_f32 v40, v30, v40 :: v_dual_add_f32 v21, v45, v69
	v_dual_mul_f32 v42, v52, v42 :: v_dual_fmac_f32 v77, v30, v39
	v_fma_f32 v16, v59, v22, -v23
	v_fma_f32 v17, v58, v24, -v25
	v_dual_sub_f32 v23, v10, v14 :: v_dual_fmac_f32 v72, v43, v20
	v_dual_sub_f32 v25, v69, v70 :: v_dual_fmac_f32 v74, v44, v24
	v_fma_f32 v18, v60, v26, -v27
	v_fmac_f32_e32 v76, v51, v28
	v_fma_f32 v19, v61, v28, -v29
	v_dual_add_f32 v22, v69, v70 :: v_dual_sub_f32 v29, v11, v15
	v_dual_fmac_f32 v78, v52, v41 :: v_dual_sub_f32 v31, v71, v72
	v_fma_f32 v20, v55, v39, -v40
	v_fma_f32 v27, v62, v41, -v42
	s_waitcnt lgkmcnt(0)
	v_dual_add_f32 v28, v71, v72 :: v_dual_add_f32 v51, v65, v18
	v_dual_add_f32 v30, v63, v11 :: v_dual_add_f32 v53, v50, v77
	v_add_f32_e32 v39, v35, v73
	v_sub_f32_e32 v41, v16, v17
	v_dual_add_f32 v24, v68, v10 :: v_dual_add_f32 v47, v75, v76
	v_dual_add_f32 v42, v64, v16 :: v_dual_sub_f32 v57, v77, v78
	v_dual_add_f32 v44, v49, v75 :: v_dual_fmac_f32 v45, -0.5, v22
	v_dual_add_f32 v11, v11, v15 :: v_dual_add_f32 v40, v73, v74
	v_dual_add_f32 v16, v16, v17 :: v_dual_add_f32 v21, v21, v70
	v_add_f32_e32 v54, v77, v78
	v_dual_add_f32 v10, v10, v14 :: v_dual_sub_f32 v55, v20, v27
	v_dual_add_f32 v26, v34, v71 :: v_dual_sub_f32 v43, v73, v74
	v_sub_f32_e32 v48, v18, v19
	v_sub_f32_e32 v52, v75, v76
	v_add_f32_e32 v58, v24, v14
	v_fma_f32 v14, -0.5, v28, v34
	v_dual_add_f32 v34, v42, v17 :: v_dual_add_f32 v17, v53, v78
	v_dual_add_f32 v28, v30, v15 :: v_dual_add_f32 v15, v44, v76
	v_dual_add_f32 v18, v18, v19 :: v_dual_fmac_f32 v35, -0.5, v40
	v_add_f32_e32 v56, v66, v20
	v_add_f32_e32 v20, v20, v27
	v_fma_f32 v30, -0.5, v11, v63
	v_dual_add_f32 v11, v39, v74 :: v_dual_fmac_f32 v64, -0.5, v16
	v_fma_f32 v16, -0.5, v47, v49
	v_add_f32_e32 v39, v51, v19
	v_fmamk_f32 v19, v29, 0xbf5db3d7, v14
	v_fmac_f32_e32 v50, -0.5, v54
	v_fmac_f32_e32 v68, -0.5, v10
	v_fma_f32 v40, -0.5, v18, v65
	v_fmamk_f32 v18, v23, 0xbf5db3d7, v45
	v_dual_fmac_f32 v45, 0x3f5db3d7, v23 :: v_dual_add_f32 v10, v26, v72
	v_fmac_f32_e32 v14, 0x3f5db3d7, v29
	v_fmac_f32_e32 v66, -0.5, v20
	v_fmamk_f32 v20, v41, 0xbf5db3d7, v35
	v_fmamk_f32 v22, v48, 0xbf5db3d7, v16
	v_fmac_f32_e32 v16, 0x3f5db3d7, v48
	v_fmamk_f32 v23, v55, 0xbf5db3d7, v50
	s_barrier
	buffer_gl0_inv
	v_fmamk_f32 v29, v31, 0x3f5db3d7, v30
	v_fmac_f32_e32 v30, 0xbf5db3d7, v31
	v_fmamk_f32 v31, v43, 0x3f5db3d7, v64
	v_dual_fmac_f32 v35, 0x3f5db3d7, v41 :: v_dual_fmamk_f32 v42, v25, 0x3f5db3d7, v68
	v_fmac_f32_e32 v68, 0xbf5db3d7, v25
	v_fmac_f32_e32 v50, 0x3f5db3d7, v55
	ds_store_2addr_b32 v32, v21, v18 offset1:50
	ds_store_b32 v32, v45 offset:400
	ds_store_2addr_b32 v67, v10, v19 offset1:50
	ds_store_b32 v67, v14 offset:400
	ds_store_2addr_b32 v32, v11, v20 offset0:160 offset1:210
	ds_store_b32 v32, v35 offset:1040
	ds_store_2addr_b32 v3, v15, v22 offset1:50
	ds_store_b32 v3, v16 offset:400
	ds_store_2addr_b32 v8, v17, v23 offset0:44 offset1:94
	ds_store_b32 v37, v50 offset:1600
	s_waitcnt lgkmcnt(0)
	s_barrier
	buffer_gl0_inv
	ds_load_b32 v26, v36
	ds_load_2addr_b32 v[14:15], v32 offset0:150 offset1:180
	ds_load_2addr_b32 v[24:25], v0 offset0:14 offset1:44
	;; [unrolled: 1-line block ×7, first 2 shown]
	v_fmac_f32_e32 v64, 0xbf5db3d7, v43
	v_fmamk_f32 v41, v52, 0x3f5db3d7, v40
	v_fmac_f32_e32 v40, 0xbf5db3d7, v52
	v_dual_add_f32 v0, v56, v27 :: v_dual_fmamk_f32 v27, v57, 0x3f5db3d7, v66
	v_fmac_f32_e32 v66, 0xbf5db3d7, v57
	s_waitcnt lgkmcnt(0)
	s_barrier
	buffer_gl0_inv
	ds_store_2addr_b32 v32, v58, v42 offset1:50
	ds_store_b32 v32, v68 offset:400
	ds_store_2addr_b32 v67, v28, v29 offset1:50
	ds_store_b32 v67, v30 offset:400
	ds_store_2addr_b32 v32, v34, v31 offset0:160 offset1:210
	ds_store_b32 v32, v64 offset:1040
	ds_store_2addr_b32 v3, v39, v41 offset1:50
	ds_store_b32 v3, v40 offset:400
	ds_store_2addr_b32 v8, v0, v27 offset0:44 offset1:94
	ds_store_b32 v37, v66 offset:1600
	s_waitcnt lgkmcnt(0)
	s_barrier
	buffer_gl0_inv
	s_and_saveexec_b32 s0, vcc_lo
	s_cbranch_execz .LBB0_21
; %bb.20:
	v_lshlrev_b32_e32 v8, 1, v2
	v_mul_lo_u32 v31, s2, v7
	v_add_nc_u32_e32 v37, 0x78, v46
	v_lshlrev_b64 v[4:5], 3, v[4:5]
	s_delay_alu instid0(VALU_DEP_4) | instskip(SKIP_1) | instid1(VALU_DEP_4)
	v_lshlrev_b64 v[2:3], 3, v[8:9]
	v_lshlrev_b32_e32 v8, 1, v1
	v_mul_hi_u32 v45, 0x1b4e81b5, v37
	s_delay_alu instid0(VALU_DEP_2) | instskip(NEXT) | instid1(VALU_DEP_4)
	v_lshlrev_b64 v[34:35], 3, v[8:9]
	v_add_co_u32 v0, vcc_lo, s8, v2
	v_add_co_ci_u32_e32 v1, vcc_lo, s9, v3, vcc_lo
	v_lshlrev_b32_e32 v8, 1, v33
	v_add_nc_u32_e32 v33, 30, v46
	s_clause 0x1
	global_load_b128 v[0:3], v[0:1], off offset:1120
	global_load_b128 v[27:30], v[12:13], off offset:1120
	v_add_co_u32 v12, vcc_lo, s8, v34
	v_add_co_ci_u32_e32 v13, vcc_lo, s9, v35, vcc_lo
	v_add_nc_u32_e32 v34, 60, v46
	v_add_nc_u32_e32 v35, 0x5a, v46
	v_lshrrev_b32_e32 v57, 4, v45
	global_load_b128 v[39:42], v[12:13], off offset:1120
	v_lshlrev_b64 v[12:13], 3, v[8:9]
	v_lshlrev_b32_e32 v8, 1, v38
	v_mul_hi_u32 v38, 0x1b4e81b5, v33
	v_mul_hi_u32 v43, 0x1b4e81b5, v34
	;; [unrolled: 1-line block ×3, first 2 shown]
	s_delay_alu instid0(VALU_DEP_4) | instskip(SKIP_3) | instid1(VALU_DEP_4)
	v_lshlrev_b64 v[8:9], 3, v[8:9]
	v_add_co_u32 v12, vcc_lo, s8, v12
	v_add_co_ci_u32_e32 v13, vcc_lo, s9, v13, vcc_lo
	v_lshrrev_b32_e32 v55, 4, v43
	v_add_co_u32 v8, vcc_lo, s8, v8
	global_load_b128 v[47:50], v[12:13], off offset:1120
	v_add_co_ci_u32_e32 v9, vcc_lo, s9, v9, vcc_lo
	v_lshrrev_b32_e32 v56, 4, v44
	v_mul_lo_u32 v44, 0x96, v57
	global_load_b128 v[51:54], v[8:9], off offset:1120
	v_mul_lo_u32 v9, s3, v6
	v_mad_u64_u32 v[7:8], null, s2, v6, 0
	v_mul_hi_u32 v6, 0x1b4e81b5, v46
	v_mul_lo_u32 v43, 0x96, v56
	ds_load_2addr_b32 v[12:13], v32 offset0:90 offset1:120
	v_add3_u32 v8, v8, v31, v9
	v_lshrrev_b32_e32 v31, 4, v38
	v_lshrrev_b32_e32 v6, 4, v6
	v_mul_lo_u32 v38, 0x96, v55
	s_delay_alu instid0(VALU_DEP_2) | instskip(SKIP_2) | instid1(VALU_DEP_2)
	v_mul_lo_u32 v9, 0x96, v6
	v_lshlrev_b64 v[6:7], 3, v[7:8]
	v_mul_lo_u32 v8, 0x96, v31
	v_add_co_u32 v6, vcc_lo, s6, v6
	s_delay_alu instid0(VALU_DEP_3) | instskip(SKIP_1) | instid1(VALU_DEP_3)
	v_add_co_ci_u32_e32 v7, vcc_lo, s7, v7, vcc_lo
	v_sub_nc_u32_e32 v46, v46, v9
	v_add_co_u32 v87, vcc_lo, v6, v4
	s_delay_alu instid0(VALU_DEP_3)
	v_add_co_ci_u32_e32 v88, vcc_lo, v7, v5, vcc_lo
	v_sub_nc_u32_e32 v6, v33, v8
	v_sub_nc_u32_e32 v7, v34, v38
	v_sub_nc_u32_e32 v8, v35, v43
	v_sub_nc_u32_e32 v9, v37, v44
	v_mad_u64_u32 v[4:5], null, s12, v46, 0
	s_delay_alu instid0(VALU_DEP_4) | instskip(NEXT) | instid1(VALU_DEP_4)
	v_mad_u64_u32 v[43:44], null, 0x1c2, v31, v[6:7]
	v_mad_u64_u32 v[44:45], null, 0x1c2, v55, v[7:8]
	s_delay_alu instid0(VALU_DEP_4) | instskip(SKIP_1) | instid1(VALU_DEP_3)
	v_mad_u64_u32 v[6:7], null, 0x1c2, v56, v[8:9]
	v_mad_u64_u32 v[7:8], null, 0x1c2, v57, v[9:10]
	;; [unrolled: 1-line block ×3, first 2 shown]
	s_delay_alu instid0(VALU_DEP_3) | instskip(SKIP_3) | instid1(VALU_DEP_4)
	v_add_nc_u32_e32 v82, 0x96, v6
	v_add_nc_u32_e32 v83, 0x12c, v6
	v_mad_u64_u32 v[8:9], null, s13, v46, v[5:6]
	v_mad_u64_u32 v[59:60], null, s12, v7, 0
	;; [unrolled: 1-line block ×3, first 2 shown]
	v_add_nc_u32_e32 v61, 0x96, v46
	v_mad_u64_u32 v[72:73], null, s12, v83, 0
	v_add_nc_u32_e32 v63, 0x12c, v46
	v_mad_u64_u32 v[45:46], null, s12, v43, 0
	s_delay_alu instid0(VALU_DEP_4) | instskip(NEXT) | instid1(VALU_DEP_3)
	v_mad_u64_u32 v[33:34], null, s12, v61, 0
	v_mad_u64_u32 v[37:38], null, s12, v63, 0
	v_add_nc_u32_e32 v78, 0x96, v43
	v_mad_u64_u32 v[57:58], null, s12, v6, 0
	v_add_nc_u32_e32 v89, 0x12c, v7
	v_mov_b32_e32 v5, v34
	v_mov_b32_e32 v9, v38
	s_delay_alu instid0(VALU_DEP_2) | instskip(NEXT) | instid1(VALU_DEP_2)
	v_mad_u64_u32 v[34:35], null, s13, v61, v[5:6]
	v_mad_u64_u32 v[61:62], null, s13, v63, v[9:10]
	v_dual_mov_b32 v5, v8 :: v_dual_mov_b32 v8, v46
	v_mov_b32_e32 v9, v56
	v_mov_b32_e32 v35, v60
	v_mad_u64_u32 v[62:63], null, s12, v78, 0
	v_mov_b32_e32 v38, v61
	s_delay_alu instid0(VALU_DEP_4)
	v_mad_u64_u32 v[60:61], null, s13, v43, v[8:9]
	v_add_nc_u32_e32 v79, 0x12c, v43
	v_mad_u64_u32 v[74:75], null, s13, v44, v[9:10]
	v_add_nc_u32_e32 v81, 0x12c, v44
	v_dual_mov_b32 v31, v58 :: v_dual_mov_b32 v8, v63
	v_mov_b32_e32 v46, v60
	v_mad_u64_u32 v[64:65], null, s12, v79, 0
	v_mov_b32_e32 v56, v74
	v_add_nc_u32_e32 v80, 0x96, v44
	v_mad_u64_u32 v[68:69], null, s12, v81, 0
	v_mad_u64_u32 v[75:76], null, s13, v7, v[35:36]
	v_mov_b32_e32 v9, v65
	s_delay_alu instid0(VALU_DEP_4) | instskip(SKIP_2) | instid1(VALU_DEP_4)
	v_mad_u64_u32 v[66:67], null, s12, v80, 0
	v_add_nc_u32_e32 v85, 0x400, v32
	v_mad_u64_u32 v[43:44], null, s13, v6, v[31:32]
	v_mad_u64_u32 v[76:77], null, s13, v78, v[8:9]
	v_add_nc_u32_e32 v86, 0x96, v7
	v_dual_mov_b32 v6, v67 :: v_dual_mov_b32 v7, v69
	v_mad_u64_u32 v[77:78], null, s13, v79, v[9:10]
	s_delay_alu instid0(VALU_DEP_4) | instskip(NEXT) | instid1(VALU_DEP_3)
	v_dual_mov_b32 v8, v71 :: v_dual_mov_b32 v63, v76
	v_mad_u64_u32 v[78:79], null, s13, v80, v[6:7]
	v_mov_b32_e32 v6, v73
	s_delay_alu instid0(VALU_DEP_3) | instskip(SKIP_2) | instid1(VALU_DEP_4)
	v_mad_u64_u32 v[79:80], null, s13, v81, v[7:8]
	v_mad_u64_u32 v[80:81], null, s13, v82, v[8:9]
	v_mov_b32_e32 v58, v43
	v_mad_u64_u32 v[7:8], null, s13, v83, v[6:7]
	v_mad_u64_u32 v[8:9], null, s12, v86, 0
	v_dual_mov_b32 v60, v75 :: v_dual_mov_b32 v65, v77
	ds_load_2addr_b32 v[81:82], v32 offset0:210 offset1:240
	ds_load_2addr_b32 v[43:44], v32 offset0:30 offset1:60
	;; [unrolled: 1-line block ×3, first 2 shown]
	ds_load_b32 v90, v36
	ds_load_2addr_b32 v[35:36], v85 offset0:14 offset1:44
	v_mov_b32_e32 v6, v9
	v_mad_u64_u32 v[83:84], null, s12, v89, 0
	v_mov_b32_e32 v67, v78
	v_mov_b32_e32 v71, v80
	s_delay_alu instid0(VALU_DEP_4)
	v_mad_u64_u32 v[74:75], null, s13, v86, v[6:7]
	ds_load_2addr_b32 v[75:76], v85 offset0:134 offset1:164
	ds_load_2addr_b32 v[85:86], v85 offset0:74 offset1:104
	v_dual_mov_b32 v6, v84 :: v_dual_mov_b32 v73, v7
	v_lshlrev_b64 v[4:5], 3, v[4:5]
	v_lshlrev_b64 v[33:34], 3, v[33:34]
	v_mov_b32_e32 v9, v74
	s_delay_alu instid0(VALU_DEP_4)
	v_mad_u64_u32 v[77:78], null, s13, v89, v[6:7]
	v_mov_b32_e32 v69, v79
	v_lshlrev_b64 v[6:7], 3, v[59:60]
	v_lshlrev_b64 v[59:60], 3, v[62:63]
	;; [unrolled: 1-line block ×4, first 2 shown]
	v_add_co_u32 v4, vcc_lo, v87, v4
	v_mov_b32_e32 v84, v77
	v_lshlrev_b64 v[65:66], 3, v[68:69]
	v_lshlrev_b64 v[37:38], 3, v[37:38]
	v_add_co_ci_u32_e32 v5, vcc_lo, v88, v5, vcc_lo
	v_add_co_u32 v33, vcc_lo, v87, v33
	v_lshlrev_b64 v[45:46], 3, v[45:46]
	v_add_co_ci_u32_e32 v34, vcc_lo, v88, v34, vcc_lo
	v_add_co_u32 v37, vcc_lo, v87, v37
	v_lshlrev_b64 v[55:56], 3, v[55:56]
	v_add_co_ci_u32_e32 v38, vcc_lo, v88, v38, vcc_lo
	v_lshlrev_b64 v[57:58], 3, v[57:58]
	v_add_co_u32 v45, vcc_lo, v87, v45
	v_add_co_ci_u32_e32 v46, vcc_lo, v88, v46, vcc_lo
	v_add_co_u32 v55, vcc_lo, v87, v55
	v_add_co_ci_u32_e32 v56, vcc_lo, v88, v56, vcc_lo
	;; [unrolled: 2-line block ×8, first 2 shown]
	s_waitcnt vmcnt(4)
	v_mul_f32_e32 v74, v23, v3
	v_lshlrev_b64 v[67:68], 3, v[70:71]
	s_waitcnt vmcnt(3)
	v_mul_f32_e32 v78, v25, v30
	v_lshlrev_b64 v[69:70], 3, v[72:73]
	v_mul_f32_e32 v73, v24, v1
	s_waitcnt lgkmcnt(2)
	v_dual_mul_f32 v1, v35, v1 :: v_dual_mul_f32 v30, v36, v30
	s_waitcnt lgkmcnt(1)
	v_mul_f32_e32 v77, v76, v3
	v_mul_f32_e32 v3, v14, v28
	v_mul_f32_e32 v28, v31, v28
	v_fma_f32 v35, v35, v0, -v73
	v_fma_f32 v73, v76, v2, -v74
	v_fmac_f32_e32 v1, v24, v0
	v_dual_fmac_f32 v77, v23, v2 :: v_dual_fmac_f32 v30, v25, v29
	s_waitcnt vmcnt(2)
	v_mul_f32_e32 v0, v21, v40
	v_mul_f32_e32 v2, v22, v42
	v_dual_mul_f32 v23, v82, v40 :: v_dual_mul_f32 v40, v75, v42
	v_fma_f32 v3, v31, v27, -v3
	v_fma_f32 v24, v36, v29, -v78
	v_fmac_f32_e32 v28, v14, v27
	v_add_f32_e32 v14, v35, v73
	v_sub_f32_e32 v25, v1, v77
	v_dual_add_f32 v27, v13, v35 :: v_dual_fmac_f32 v40, v22, v41
	v_add_f32_e32 v29, v1, v77
	s_waitcnt vmcnt(1)
	v_dual_sub_f32 v31, v35, v73 :: v_dual_mul_f32 v22, v17, v50
	v_dual_add_f32 v35, v19, v1 :: v_dual_add_f32 v74, v90, v3
	v_fma_f32 v36, v82, v39, -v0
	v_fma_f32 v42, v75, v41, -v2
	v_dual_fmac_f32 v23, v21, v39 :: v_dual_sub_f32 v76, v3, v24
	s_delay_alu instid0(VALU_DEP_4)
	v_dual_mul_f32 v21, v20, v48 :: v_dual_add_f32 v2, v35, v77
	v_mul_f32_e32 v39, v81, v48
	v_add_f32_e32 v48, v3, v24
	v_fma_f32 v1, -0.5, v14, v13
	s_waitcnt lgkmcnt(0)
	v_mul_f32_e32 v41, v86, v50
	v_sub_f32_e32 v50, v28, v30
	v_dual_add_f32 v75, v28, v30 :: v_dual_add_f32 v28, v26, v28
	v_add_f32_e32 v3, v27, v73
	v_fma_f32 v0, -0.5, v29, v19
	v_add_f32_e32 v27, v36, v42
	v_fma_f32 v78, v81, v47, -v21
	v_add_f32_e32 v73, v23, v40
	v_fma_f32 v79, v86, v49, -v22
	v_add_f32_e32 v35, v12, v36
	v_sub_f32_e32 v36, v36, v42
	v_fma_f32 v14, -0.5, v48, v90
	v_fmac_f32_e32 v39, v20, v47
	v_fmamk_f32 v22, v25, 0xbf5db3d7, v1
	v_fmac_f32_e32 v41, v17, v49
	s_waitcnt vmcnt(0)
	v_mul_f32_e32 v17, v15, v52
	v_dual_mul_f32 v49, v32, v52 :: v_dual_mul_f32 v52, v85, v54
	v_sub_f32_e32 v29, v23, v40
	v_dual_mul_f32 v47, v16, v54 :: v_dual_add_f32 v20, v74, v24
	v_fma_f32 v13, -0.5, v75, v26
	v_fma_f32 v24, -0.5, v27, v12
	v_add_f32_e32 v12, v78, v79
	v_dual_add_f32 v77, v18, v23 :: v_dual_add_f32 v26, v35, v42
	v_fma_f32 v23, -0.5, v73, v18
	v_fmamk_f32 v21, v31, 0x3f5db3d7, v0
	v_dual_fmac_f32 v0, 0xbf5db3d7, v31 :: v_dual_add_f32 v19, v28, v30
	v_fmac_f32_e32 v52, v16, v53
	v_fma_f32 v32, v32, v51, -v17
	v_sub_f32_e32 v31, v78, v79
	v_fmamk_f32 v16, v50, 0xbf5db3d7, v14
	v_add_f32_e32 v28, v11, v39
	v_sub_f32_e32 v30, v39, v41
	v_fma_f32 v35, v85, v53, -v47
	v_fmac_f32_e32 v14, 0x3f5db3d7, v50
	global_store_b64 v[4:5], v[19:20], off
	v_add_f32_e32 v20, v43, v32
	v_fma_f32 v12, -0.5, v12, v44
	v_fmac_f32_e32 v49, v15, v51
	v_fmamk_f32 v15, v76, 0x3f5db3d7, v13
	s_delay_alu instid0(VALU_DEP_4)
	v_dual_fmac_f32 v13, 0xbf5db3d7, v76 :: v_dual_add_f32 v20, v20, v35
	v_add_f32_e32 v17, v28, v41
	v_add_f32_e32 v19, v32, v35
	s_clause 0x1
	global_store_b64 v[33:34], v[13:14], off
	global_store_b64 v[37:38], v[15:16], off
	v_fmamk_f32 v16, v30, 0xbf5db3d7, v12
	v_dual_fmac_f32 v12, 0x3f5db3d7, v30 :: v_dual_add_f32 v27, v39, v41
	v_add_f32_e32 v28, v49, v52
	v_lshlrev_b64 v[8:9], 3, v[8:9]
	v_add_co_u32 v67, vcc_lo, v87, v67
	v_dual_add_f32 v18, v44, v78 :: v_dual_fmac_f32 v1, 0x3f5db3d7, v25
	v_add_f32_e32 v25, v77, v40
	v_fmamk_f32 v5, v29, 0xbf5db3d7, v24
	v_dual_fmac_f32 v24, 0x3f5db3d7, v29 :: v_dual_sub_f32 v29, v32, v35
	v_add_f32_e32 v32, v10, v49
	v_add_co_ci_u32_e32 v68, vcc_lo, v88, v68, vcc_lo
	v_fma_f32 v11, -0.5, v27, v11
	v_sub_f32_e32 v27, v49, v52
	v_fma_f32 v14, -0.5, v19, v43
	v_fma_f32 v13, -0.5, v28, v10
	v_lshlrev_b64 v[71:72], 3, v[83:84]
	v_add_co_u32 v69, vcc_lo, v87, v69
	v_add_co_ci_u32_e32 v70, vcc_lo, v88, v70, vcc_lo
	v_add_co_u32 v8, vcc_lo, v87, v8
	v_add_f32_e32 v19, v32, v52
	v_fmamk_f32 v4, v36, 0x3f5db3d7, v23
	v_dual_fmac_f32 v23, 0xbf5db3d7, v36 :: v_dual_fmamk_f32 v28, v27, 0xbf5db3d7, v14
	v_dual_fmac_f32 v14, 0x3f5db3d7, v27 :: v_dual_fmamk_f32 v27, v29, 0x3f5db3d7, v13
	v_fmac_f32_e32 v13, 0xbf5db3d7, v29
	v_add_co_ci_u32_e32 v9, vcc_lo, v88, v9, vcc_lo
	v_add_f32_e32 v18, v18, v79
	v_add_co_u32 v10, vcc_lo, v87, v71
	v_fmamk_f32 v15, v31, 0x3f5db3d7, v11
	v_fmac_f32_e32 v11, 0xbf5db3d7, v31
	s_clause 0x6
	global_store_b64 v[45:46], v[19:20], off
	global_store_b64 v[59:60], v[13:14], off
	;; [unrolled: 1-line block ×7, first 2 shown]
	v_add_co_ci_u32_e32 v11, vcc_lo, v88, v72, vcc_lo
	s_clause 0x4
	global_store_b64 v[67:68], v[23:24], off
	global_store_b64 v[69:70], v[4:5], off
	;; [unrolled: 1-line block ×5, first 2 shown]
.LBB0_21:
	s_nop 0
	s_sendmsg sendmsg(MSG_DEALLOC_VGPRS)
	s_endpgm
	.section	.rodata,"a",@progbits
	.p2align	6, 0x0
	.amdhsa_kernel fft_rtc_back_len450_factors_10_5_3_3_wgs_120_tpt_30_halfLds_sp_op_CI_CI_sbrr_dirReg
		.amdhsa_group_segment_fixed_size 0
		.amdhsa_private_segment_fixed_size 0
		.amdhsa_kernarg_size 104
		.amdhsa_user_sgpr_count 15
		.amdhsa_user_sgpr_dispatch_ptr 0
		.amdhsa_user_sgpr_queue_ptr 0
		.amdhsa_user_sgpr_kernarg_segment_ptr 1
		.amdhsa_user_sgpr_dispatch_id 0
		.amdhsa_user_sgpr_private_segment_size 0
		.amdhsa_wavefront_size32 1
		.amdhsa_uses_dynamic_stack 0
		.amdhsa_enable_private_segment 0
		.amdhsa_system_sgpr_workgroup_id_x 1
		.amdhsa_system_sgpr_workgroup_id_y 0
		.amdhsa_system_sgpr_workgroup_id_z 0
		.amdhsa_system_sgpr_workgroup_info 0
		.amdhsa_system_vgpr_workitem_id 0
		.amdhsa_next_free_vgpr 93
		.amdhsa_next_free_sgpr 31
		.amdhsa_reserve_vcc 1
		.amdhsa_float_round_mode_32 0
		.amdhsa_float_round_mode_16_64 0
		.amdhsa_float_denorm_mode_32 3
		.amdhsa_float_denorm_mode_16_64 3
		.amdhsa_dx10_clamp 1
		.amdhsa_ieee_mode 1
		.amdhsa_fp16_overflow 0
		.amdhsa_workgroup_processor_mode 1
		.amdhsa_memory_ordered 1
		.amdhsa_forward_progress 0
		.amdhsa_shared_vgpr_count 0
		.amdhsa_exception_fp_ieee_invalid_op 0
		.amdhsa_exception_fp_denorm_src 0
		.amdhsa_exception_fp_ieee_div_zero 0
		.amdhsa_exception_fp_ieee_overflow 0
		.amdhsa_exception_fp_ieee_underflow 0
		.amdhsa_exception_fp_ieee_inexact 0
		.amdhsa_exception_int_div_zero 0
	.end_amdhsa_kernel
	.text
.Lfunc_end0:
	.size	fft_rtc_back_len450_factors_10_5_3_3_wgs_120_tpt_30_halfLds_sp_op_CI_CI_sbrr_dirReg, .Lfunc_end0-fft_rtc_back_len450_factors_10_5_3_3_wgs_120_tpt_30_halfLds_sp_op_CI_CI_sbrr_dirReg
                                        ; -- End function
	.section	.AMDGPU.csdata,"",@progbits
; Kernel info:
; codeLenInByte = 10548
; NumSgprs: 33
; NumVgprs: 93
; ScratchSize: 0
; MemoryBound: 0
; FloatMode: 240
; IeeeMode: 1
; LDSByteSize: 0 bytes/workgroup (compile time only)
; SGPRBlocks: 4
; VGPRBlocks: 11
; NumSGPRsForWavesPerEU: 33
; NumVGPRsForWavesPerEU: 93
; Occupancy: 16
; WaveLimiterHint : 1
; COMPUTE_PGM_RSRC2:SCRATCH_EN: 0
; COMPUTE_PGM_RSRC2:USER_SGPR: 15
; COMPUTE_PGM_RSRC2:TRAP_HANDLER: 0
; COMPUTE_PGM_RSRC2:TGID_X_EN: 1
; COMPUTE_PGM_RSRC2:TGID_Y_EN: 0
; COMPUTE_PGM_RSRC2:TGID_Z_EN: 0
; COMPUTE_PGM_RSRC2:TIDIG_COMP_CNT: 0
	.text
	.p2alignl 7, 3214868480
	.fill 96, 4, 3214868480
	.type	__hip_cuid_c2803c5672dd8f8,@object ; @__hip_cuid_c2803c5672dd8f8
	.section	.bss,"aw",@nobits
	.globl	__hip_cuid_c2803c5672dd8f8
__hip_cuid_c2803c5672dd8f8:
	.byte	0                               ; 0x0
	.size	__hip_cuid_c2803c5672dd8f8, 1

	.ident	"AMD clang version 19.0.0git (https://github.com/RadeonOpenCompute/llvm-project roc-6.4.0 25133 c7fe45cf4b819c5991fe208aaa96edf142730f1d)"
	.section	".note.GNU-stack","",@progbits
	.addrsig
	.addrsig_sym __hip_cuid_c2803c5672dd8f8
	.amdgpu_metadata
---
amdhsa.kernels:
  - .args:
      - .actual_access:  read_only
        .address_space:  global
        .offset:         0
        .size:           8
        .value_kind:     global_buffer
      - .offset:         8
        .size:           8
        .value_kind:     by_value
      - .actual_access:  read_only
        .address_space:  global
        .offset:         16
        .size:           8
        .value_kind:     global_buffer
      - .actual_access:  read_only
        .address_space:  global
        .offset:         24
        .size:           8
        .value_kind:     global_buffer
      - .actual_access:  read_only
        .address_space:  global
        .offset:         32
        .size:           8
        .value_kind:     global_buffer
      - .offset:         40
        .size:           8
        .value_kind:     by_value
      - .actual_access:  read_only
        .address_space:  global
        .offset:         48
        .size:           8
        .value_kind:     global_buffer
      - .actual_access:  read_only
        .address_space:  global
        .offset:         56
        .size:           8
        .value_kind:     global_buffer
      - .offset:         64
        .size:           4
        .value_kind:     by_value
      - .actual_access:  read_only
        .address_space:  global
        .offset:         72
        .size:           8
        .value_kind:     global_buffer
      - .actual_access:  read_only
        .address_space:  global
        .offset:         80
        .size:           8
        .value_kind:     global_buffer
      - .actual_access:  read_only
        .address_space:  global
        .offset:         88
        .size:           8
        .value_kind:     global_buffer
      - .actual_access:  write_only
        .address_space:  global
        .offset:         96
        .size:           8
        .value_kind:     global_buffer
    .group_segment_fixed_size: 0
    .kernarg_segment_align: 8
    .kernarg_segment_size: 104
    .language:       OpenCL C
    .language_version:
      - 2
      - 0
    .max_flat_workgroup_size: 120
    .name:           fft_rtc_back_len450_factors_10_5_3_3_wgs_120_tpt_30_halfLds_sp_op_CI_CI_sbrr_dirReg
    .private_segment_fixed_size: 0
    .sgpr_count:     33
    .sgpr_spill_count: 0
    .symbol:         fft_rtc_back_len450_factors_10_5_3_3_wgs_120_tpt_30_halfLds_sp_op_CI_CI_sbrr_dirReg.kd
    .uniform_work_group_size: 1
    .uses_dynamic_stack: false
    .vgpr_count:     93
    .vgpr_spill_count: 0
    .wavefront_size: 32
    .workgroup_processor_mode: 1
amdhsa.target:   amdgcn-amd-amdhsa--gfx1100
amdhsa.version:
  - 1
  - 2
...

	.end_amdgpu_metadata
